;; amdgpu-corpus repo=ROCm/rocFFT kind=compiled arch=gfx1201 opt=O3
	.text
	.amdgcn_target "amdgcn-amd-amdhsa--gfx1201"
	.amdhsa_code_object_version 6
	.protected	bluestein_single_back_len2028_dim1_dp_op_CI_CI ; -- Begin function bluestein_single_back_len2028_dim1_dp_op_CI_CI
	.globl	bluestein_single_back_len2028_dim1_dp_op_CI_CI
	.p2align	8
	.type	bluestein_single_back_len2028_dim1_dp_op_CI_CI,@function
bluestein_single_back_len2028_dim1_dp_op_CI_CI: ; @bluestein_single_back_len2028_dim1_dp_op_CI_CI
; %bb.0:
	s_load_b128 s[16:19], s[0:1], 0x28
	v_mul_u32_u24_e32 v1, 0x1a5, v0
	s_mov_b32 s2, exec_lo
	v_mov_b32_e32 v5, 0
	s_delay_alu instid0(VALU_DEP_2) | instskip(NEXT) | instid1(VALU_DEP_1)
	v_lshrrev_b32_e32 v1, 16, v1
	v_add_nc_u32_e32 v4, ttmp9, v1
	s_wait_kmcnt 0x0
	s_delay_alu instid0(VALU_DEP_1)
	v_cmpx_gt_u64_e64 s[16:17], v[4:5]
	s_cbranch_execz .LBB0_18
; %bb.1:
	s_clause 0x1
	s_load_b128 s[4:7], s[0:1], 0x18
	s_load_b128 s[8:11], s[0:1], 0x0
	v_mul_lo_u16 v1, 0x9c, v1
	s_mov_b32 s28, 0x42a4c3d2
	s_mov_b32 s26, 0x66966769
	;; [unrolled: 1-line block ×4, first 2 shown]
	v_sub_nc_u16 v24, v0, v1
	s_mov_b32 s16, 0x4bc48dbf
	s_mov_b32 s35, 0xbfddbe06
	;; [unrolled: 1-line block ×3, first 2 shown]
	s_delay_alu instid0(VALU_DEP_1)
	v_dual_mov_b32 v5, v4 :: v_dual_and_b32 v200, 0xffff, v24
	s_mov_b32 s29, 0xbfea55e2
	s_mov_b32 s27, 0xbfefc445
	;; [unrolled: 1-line block ×3, first 2 shown]
	scratch_store_b64 off, v[5:6], off      ; 8-byte Folded Spill
	v_lshlrev_b32_e32 v255, 4, v200
	s_mov_b32 s23, 0xbfe5384d
	s_mov_b32 s17, 0xbfcea1e5
	s_wait_kmcnt 0x0
	s_load_b128 s[12:15], s[4:5], 0x0
	s_mov_b32 s30, 0xe00740e9
	s_mov_b32 s20, 0x1ea71119
	;; [unrolled: 1-line block ×10, first 2 shown]
	s_wait_kmcnt 0x0
	v_mad_co_u64_u32 v[0:1], null, s14, v4, 0
	v_mad_co_u64_u32 v[2:3], null, s12, v200, 0
	s_mul_u64 s[2:3], s[12:13], 0x9c0
	s_delay_alu instid0(VALU_DEP_1) | instskip(SKIP_2) | instid1(VALU_DEP_1)
	v_mad_co_u64_u32 v[4:5], null, s15, v4, v[1:2]
	s_mov_b32 s14, 0xb2365da1
	s_mov_b32 s15, 0xbfd6b1d8
	v_mad_co_u64_u32 v[5:6], null, s13, v200, v[3:4]
	v_mov_b32_e32 v1, v4
	s_mov_b32 s12, 0xd0032e0c
	s_mov_b32 s13, 0xbfe7f3cc
	s_delay_alu instid0(VALU_DEP_1) | instskip(NEXT) | instid1(VALU_DEP_3)
	v_lshlrev_b64_e32 v[0:1], 4, v[0:1]
	v_mov_b32_e32 v3, v5
	s_delay_alu instid0(VALU_DEP_2) | instskip(NEXT) | instid1(VALU_DEP_2)
	v_add_co_u32 v0, vcc_lo, s18, v0
	v_lshlrev_b64_e32 v[2:3], 4, v[2:3]
	s_delay_alu instid0(VALU_DEP_4) | instskip(SKIP_2) | instid1(VALU_DEP_2)
	v_add_co_ci_u32_e32 v1, vcc_lo, s19, v1, vcc_lo
	s_mov_b32 s18, 0xebaa3ed8
	s_mov_b32 s19, 0x3fbedb7d
	v_add_co_u32 v0, vcc_lo, v0, v2
	s_wait_alu 0xfffd
	v_add_co_ci_u32_e32 v1, vcc_lo, v1, v3, vcc_lo
	s_delay_alu instid0(VALU_DEP_2) | instskip(SKIP_1) | instid1(VALU_DEP_2)
	v_add_co_u32 v8, vcc_lo, v0, s2
	s_wait_alu 0xfffd
	v_add_co_ci_u32_e32 v9, vcc_lo, s3, v1, vcc_lo
	global_load_b128 v[0:3], v[0:1], off
	s_clause 0x1
	global_load_b128 v[29:32], v255, s[8:9]
	global_load_b128 v[25:28], v255, s[8:9] offset:2496
	global_load_b128 v[4:7], v[8:9], off
	v_add_co_u32 v12, vcc_lo, v8, s2
	s_wait_alu 0xfffd
	v_add_co_ci_u32_e32 v13, vcc_lo, s3, v9, vcc_lo
	global_load_b128 v[33:36], v255, s[8:9] offset:4992
	v_add_co_u32 v22, vcc_lo, v12, s2
	global_load_b128 v[8:11], v[12:13], off
	s_wait_alu 0xfffd
	v_add_co_ci_u32_e32 v23, vcc_lo, s3, v13, vcc_lo
	s_wait_loadcnt 0x4
	v_mul_f64_e32 v[14:15], v[2:3], v[31:32]
	v_mul_f64_e32 v[16:17], v[0:1], v[31:32]
	scratch_store_b128 off, v[29:32], off offset:24 ; 16-byte Folded Spill
	s_wait_loadcnt 0x3
	scratch_store_b128 off, v[25:28], off offset:8 ; 16-byte Folded Spill
	s_wait_loadcnt 0x2
	v_mul_f64_e32 v[18:19], v[6:7], v[27:28]
	v_mul_f64_e32 v[20:21], v[4:5], v[27:28]
	v_fma_f64 v[0:1], v[0:1], v[29:30], v[14:15]
	v_fma_f64 v[2:3], v[2:3], v[29:30], -v[16:17]
	global_load_b128 v[29:32], v255, s[8:9] offset:7488
	global_load_b128 v[12:15], v[22:23], off
	v_fma_f64 v[4:5], v[4:5], v[25:26], v[18:19]
	s_wait_loadcnt 0x2
	v_mul_f64_e32 v[16:17], v[10:11], v[35:36]
	v_mul_f64_e32 v[18:19], v[8:9], v[35:36]
	v_fma_f64 v[6:7], v[6:7], v[25:26], -v[20:21]
	v_add_co_u32 v20, vcc_lo, v22, s2
	s_wait_alu 0xfffd
	v_add_co_ci_u32_e32 v21, vcc_lo, s3, v23, vcc_lo
	scratch_store_b128 off, v[33:36], off offset:40 ; 16-byte Folded Spill
	v_fma_f64 v[8:9], v[8:9], v[33:34], v[16:17]
	v_fma_f64 v[10:11], v[10:11], v[33:34], -v[18:19]
	s_wait_loadcnt 0x1
	scratch_store_b128 off, v[29:32], off offset:60 ; 16-byte Folded Spill
	s_wait_loadcnt 0x0
	v_mul_f64_e32 v[16:17], v[14:15], v[31:32]
	v_mul_f64_e32 v[18:19], v[12:13], v[31:32]
	s_delay_alu instid0(VALU_DEP_2) | instskip(NEXT) | instid1(VALU_DEP_2)
	v_fma_f64 v[12:13], v[12:13], v[29:30], v[16:17]
	v_fma_f64 v[14:15], v[14:15], v[29:30], -v[18:19]
	global_load_b128 v[16:19], v[20:21], off
	s_clause 0x1
	global_load_b128 v[27:30], v255, s[8:9] offset:9984
	global_load_b128 v[31:34], v255, s[8:9] offset:12480
	s_wait_loadcnt 0x1
	v_mul_f64_e32 v[25:26], v[16:17], v[29:30]
	v_mul_f64_e32 v[22:23], v[18:19], v[29:30]
	scratch_store_b128 off, v[27:30], off offset:76 ; 16-byte Folded Spill
	s_wait_loadcnt 0x0
	scratch_store_b128 off, v[31:34], off offset:92 ; 16-byte Folded Spill
	v_fma_f64 v[18:19], v[18:19], v[27:28], -v[25:26]
	v_add_co_u32 v25, vcc_lo, v20, s2
	s_wait_alu 0xfffd
	v_add_co_ci_u32_e32 v26, vcc_lo, s3, v21, vcc_lo
	v_fma_f64 v[16:17], v[16:17], v[27:28], v[22:23]
	global_load_b128 v[20:23], v[25:26], off
	s_wait_loadcnt 0x0
	v_mul_f64_e32 v[29:30], v[20:21], v[33:34]
	v_mul_f64_e32 v[27:28], v[22:23], v[33:34]
	s_delay_alu instid0(VALU_DEP_2) | instskip(SKIP_3) | instid1(VALU_DEP_4)
	v_fma_f64 v[22:23], v[22:23], v[31:32], -v[29:30]
	v_add_co_u32 v29, vcc_lo, v25, s2
	s_wait_alu 0xfffd
	v_add_co_ci_u32_e32 v30, vcc_lo, s3, v26, vcc_lo
	v_fma_f64 v[20:21], v[20:21], v[31:32], v[27:28]
	global_load_b128 v[25:28], v[29:30], off
	s_clause 0x1
	global_load_b128 v[35:38], v255, s[8:9] offset:14976
	global_load_b128 v[39:42], v255, s[8:9] offset:17472
	s_wait_loadcnt 0x1
	v_mul_f64_e32 v[33:34], v[25:26], v[37:38]
	v_mul_f64_e32 v[31:32], v[27:28], v[37:38]
	scratch_store_b128 off, v[35:38], off offset:108 ; 16-byte Folded Spill
	s_wait_loadcnt 0x0
	scratch_store_b128 off, v[39:42], off offset:124 ; 16-byte Folded Spill
	v_fma_f64 v[27:28], v[27:28], v[35:36], -v[33:34]
	v_add_co_u32 v33, vcc_lo, v29, s2
	s_wait_alu 0xfffd
	v_add_co_ci_u32_e32 v34, vcc_lo, s3, v30, vcc_lo
	v_fma_f64 v[25:26], v[25:26], v[35:36], v[31:32]
	global_load_b128 v[29:32], v[33:34], off
	s_wait_loadcnt 0x0
	v_mul_f64_e32 v[37:38], v[29:30], v[41:42]
	v_mul_f64_e32 v[35:36], v[31:32], v[41:42]
	s_delay_alu instid0(VALU_DEP_2) | instskip(SKIP_3) | instid1(VALU_DEP_4)
	v_fma_f64 v[31:32], v[31:32], v[39:40], -v[37:38]
	v_add_co_u32 v37, vcc_lo, v33, s2
	s_wait_alu 0xfffd
	v_add_co_ci_u32_e32 v38, vcc_lo, s3, v34, vcc_lo
	v_fma_f64 v[29:30], v[29:30], v[39:40], v[35:36]
	;; [unrolled: 25-line block ×3, first 2 shown]
	global_load_b128 v[41:44], v[45:46], off
	s_clause 0x1
	global_load_b128 v[51:54], v255, s[8:9] offset:24960
	global_load_b128 v[55:58], v255, s[8:9] offset:27456
	s_wait_loadcnt 0x1
	v_mul_f64_e32 v[49:50], v[41:42], v[53:54]
	v_mul_f64_e32 v[47:48], v[43:44], v[53:54]
	scratch_store_b128 off, v[51:54], off offset:172 ; 16-byte Folded Spill
	s_wait_loadcnt 0x0
	scratch_store_b128 off, v[55:58], off offset:188 ; 16-byte Folded Spill
	v_fma_f64 v[43:44], v[43:44], v[51:52], -v[49:50]
	v_add_co_u32 v49, vcc_lo, v45, s2
	s_wait_alu 0xfffd
	v_add_co_ci_u32_e32 v50, vcc_lo, s3, v46, vcc_lo
	v_fma_f64 v[41:42], v[41:42], v[51:52], v[47:48]
	global_load_b128 v[45:48], v[49:50], off
	v_add_co_u32 v49, vcc_lo, v49, s2
	s_wait_alu 0xfffd
	v_add_co_ci_u32_e32 v50, vcc_lo, s3, v50, vcc_lo
	s_mov_b32 s2, 0x93053d00
	s_mov_b32 s3, 0xbfef11f4
	v_cmp_gt_u16_e32 vcc_lo, 39, v24
	s_wait_loadcnt 0x0
	v_mul_f64_e32 v[51:52], v[47:48], v[57:58]
	v_mul_f64_e32 v[53:54], v[45:46], v[57:58]
	s_delay_alu instid0(VALU_DEP_2)
	v_fma_f64 v[45:46], v[45:46], v[55:56], v[51:52]
	global_load_b128 v[49:52], v[49:50], off
	global_load_b128 v[57:60], v255, s[8:9] offset:29952
	v_fma_f64 v[47:48], v[47:48], v[55:56], -v[53:54]
	s_wait_loadcnt 0x0
	v_mul_f64_e32 v[53:54], v[51:52], v[59:60]
	v_mul_f64_e32 v[55:56], v[49:50], v[59:60]
	scratch_store_b128 off, v[57:60], off offset:204 ; 16-byte Folded Spill
	v_fma_f64 v[49:50], v[49:50], v[57:58], v[53:54]
	v_fma_f64 v[51:52], v[51:52], v[57:58], -v[55:56]
	ds_store_b128 v255, v[0:3]
	ds_store_b128 v255, v[4:7] offset:2496
	ds_store_b128 v255, v[8:11] offset:4992
	;; [unrolled: 1-line block ×12, first 2 shown]
	s_load_b128 s[4:7], s[6:7], 0x0
	global_wb scope:SCOPE_SE
	s_wait_storecnt_dscnt 0x0
	s_wait_kmcnt 0x0
	s_barrier_signal -1
	s_barrier_wait -1
	global_inv scope:SCOPE_SE
	ds_load_b128 v[52:55], v255
	ds_load_b128 v[56:59], v255 offset:2496
	ds_load_b128 v[60:63], v255 offset:4992
	;; [unrolled: 1-line block ×9, first 2 shown]
	s_wait_dscnt 0x8
	v_add_f64_e32 v[0:1], v[52:53], v[56:57]
	v_add_f64_e32 v[2:3], v[54:55], v[58:59]
	s_wait_dscnt 0x7
	s_delay_alu instid0(VALU_DEP_2) | instskip(NEXT) | instid1(VALU_DEP_2)
	v_add_f64_e32 v[0:1], v[0:1], v[60:61]
	v_add_f64_e32 v[2:3], v[2:3], v[62:63]
	s_wait_dscnt 0x6
	s_delay_alu instid0(VALU_DEP_2) | instskip(NEXT) | instid1(VALU_DEP_2)
	;; [unrolled: 4-line block ×5, first 2 shown]
	v_add_f64_e32 v[16:17], v[0:1], v[4:5]
	v_add_f64_e32 v[18:19], v[2:3], v[6:7]
	s_wait_dscnt 0x2
	v_add_f64_e32 v[0:1], v[4:5], v[8:9]
	v_add_f64_e32 v[2:3], v[6:7], v[10:11]
	v_add_f64_e64 v[4:5], v[4:5], -v[8:9]
	v_add_f64_e64 v[6:7], v[6:7], -v[10:11]
	v_add_f64_e32 v[29:30], v[16:17], v[8:9]
	v_add_f64_e32 v[31:32], v[18:19], v[10:11]
	s_wait_dscnt 0x1
	v_add_f64_e32 v[8:9], v[12:13], v[20:21]
	v_add_f64_e32 v[10:11], v[14:15], v[22:23]
	v_add_f64_e64 v[16:17], v[12:13], -v[20:21]
	v_add_f64_e64 v[18:19], v[14:15], -v[22:23]
	s_wait_dscnt 0x0
	v_add_f64_e32 v[12:13], v[68:69], v[25:26]
	v_add_f64_e32 v[14:15], v[70:71], v[27:28]
	v_mul_f64_e32 v[139:140], s[22:23], v[6:7]
	v_mul_f64_e32 v[141:142], s[22:23], v[4:5]
	;; [unrolled: 1-line block ×4, first 2 shown]
	v_add_f64_e32 v[29:30], v[29:30], v[20:21]
	v_add_f64_e32 v[31:32], v[31:32], v[22:23]
	v_add_f64_e64 v[20:21], v[68:69], -v[25:26]
	v_add_f64_e64 v[22:23], v[70:71], -v[27:28]
	v_mul_f64_e32 v[117:118], s[36:37], v[16:17]
	v_mul_f64_e32 v[115:116], s[36:37], v[18:19]
	;; [unrolled: 1-line block ×4, first 2 shown]
	v_add_f64_e32 v[33:34], v[29:30], v[25:26]
	v_add_f64_e32 v[35:36], v[31:32], v[27:28]
	ds_load_b128 v[25:28], v255 offset:24960
	ds_load_b128 v[29:32], v255 offset:27456
	v_mul_f64_e32 v[111:112], s[38:39], v[22:23]
	v_mul_f64_e32 v[113:114], s[38:39], v[20:21]
	;; [unrolled: 1-line block ×4, first 2 shown]
	s_wait_dscnt 0x1
	v_add_f64_e32 v[69:70], v[64:65], v[25:26]
	v_add_f64_e32 v[71:72], v[66:67], v[27:28]
	v_add_f64_e64 v[73:74], v[64:65], -v[25:26]
	v_add_f64_e64 v[75:76], v[66:67], -v[27:28]
	s_wait_dscnt 0x0
	v_add_f64_e64 v[77:78], v[60:61], -v[29:30]
	v_add_f64_e64 v[79:80], v[62:63], -v[31:32]
	v_add_f64_e32 v[81:82], v[60:61], v[29:30]
	v_add_f64_e32 v[83:84], v[62:63], v[31:32]
	v_add_f64_e32 v[25:26], v[33:34], v[25:26]
	v_add_f64_e32 v[27:28], v[35:36], v[27:28]
	v_mul_f64_e32 v[109:110], s[16:17], v[73:74]
	v_mul_f64_e32 v[127:128], s[40:41], v[75:76]
	;; [unrolled: 1-line block ×7, first 2 shown]
	s_mov_b32 s39, 0x3fcea1e5
	s_mov_b32 s38, s16
	;; [unrolled: 1-line block ×3, first 2 shown]
	s_wait_alu 0xfffe
	v_mul_f64_e32 v[155:156], s[38:39], v[18:19]
	v_mul_f64_e32 v[157:158], s[38:39], v[16:17]
	s_mov_b32 s40, s28
	v_mul_f64_e32 v[163:164], s[36:37], v[77:78]
	s_wait_alu 0xfffe
	v_mul_f64_e32 v[159:160], s[40:41], v[6:7]
	v_add_f64_e32 v[29:30], v[25:26], v[29:30]
	v_add_f64_e32 v[31:32], v[27:28], v[31:32]
	ds_load_b128 v[25:28], v255 offset:29952
	v_mul_f64_e32 v[161:162], s[40:41], v[4:5]
	v_mul_f64_e32 v[165:166], s[28:29], v[73:74]
	;; [unrolled: 1-line block ×4, first 2 shown]
	global_wb scope:SCOPE_SE
	s_wait_dscnt 0x0
	s_barrier_signal -1
	s_barrier_wait -1
	global_inv scope:SCOPE_SE
	v_add_f64_e64 v[33:34], v[58:59], -v[27:28]
	v_add_f64_e64 v[35:36], v[56:57], -v[25:26]
	v_add_f64_e32 v[37:38], v[56:57], v[25:26]
	v_add_f64_e32 v[39:40], v[58:59], v[27:28]
	;; [unrolled: 1-line block ×4, first 2 shown]
	v_mul_f64_e32 v[29:30], s[34:35], v[33:34]
	v_mul_f64_e32 v[31:32], s[28:29], v[33:34]
	;; [unrolled: 1-line block ×10, first 2 shown]
	v_fma_f64 v[47:48], v[37:38], s[30:31], -v[29:30]
	v_fma_f64 v[29:30], v[37:38], s[30:31], v[29:30]
	v_fma_f64 v[49:50], v[37:38], s[20:21], -v[31:32]
	v_fma_f64 v[31:32], v[37:38], s[20:21], v[31:32]
	;; [unrolled: 2-line block ×6, first 2 shown]
	v_mul_f64_e32 v[37:38], s[34:35], v[35:36]
	v_mul_f64_e32 v[35:36], s[16:17], v[35:36]
	v_fma_f64 v[95:96], v[39:40], s[14:15], v[85:86]
	v_fma_f64 v[91:92], v[39:40], s[20:21], v[64:65]
	v_fma_f64 v[64:65], v[39:40], s[20:21], -v[64:65]
	v_fma_f64 v[93:94], v[39:40], s[18:19], v[66:67]
	v_fma_f64 v[97:98], v[39:40], s[12:13], v[87:88]
	v_fma_f64 v[66:67], v[39:40], s[18:19], -v[66:67]
	v_fma_f64 v[85:86], v[39:40], s[14:15], -v[85:86]
	;; [unrolled: 1-line block ×3, first 2 shown]
	s_mov_b32 s35, 0x3fddbe06
	s_wait_alu 0xfffe
	v_mul_f64_e32 v[119:120], s[34:35], v[6:7]
	v_mul_f64_e32 v[121:122], s[34:35], v[4:5]
	;; [unrolled: 1-line block ×9, first 2 shown]
	v_add_f64_e32 v[101:102], v[52:53], v[47:48]
	v_add_f64_e32 v[103:104], v[52:53], v[29:30]
	;; [unrolled: 1-line block ×3, first 2 shown]
	v_fma_f64 v[89:90], v[39:40], s[30:31], v[37:38]
	v_fma_f64 v[37:38], v[39:40], s[30:31], -v[37:38]
	v_fma_f64 v[99:100], v[39:40], s[2:3], v[35:36]
	v_add_f64_e32 v[49:50], v[54:55], v[95:96]
	v_mul_f64_e32 v[95:96], s[24:25], v[79:80]
	v_fma_f64 v[35:36], v[39:40], s[2:3], -v[35:36]
	v_add_f64_e32 v[107:108], v[54:55], v[64:65]
	v_add_f64_e32 v[39:40], v[52:53], v[56:57]
	;; [unrolled: 1-line block ×10, first 2 shown]
	v_mul_f64_e32 v[97:98], s[24:25], v[77:78]
	v_add_f64_e32 v[66:67], v[54:55], v[66:67]
	v_add_f64_e32 v[85:86], v[54:55], v[85:86]
	;; [unrolled: 1-line block ×3, first 2 shown]
	v_mul_f64_e32 v[77:78], s[28:29], v[77:78]
	v_add_f64_e32 v[89:90], v[54:55], v[89:90]
	v_add_f64_e32 v[105:106], v[54:55], v[37:38]
	;; [unrolled: 1-line block ×5, first 2 shown]
	v_fma_f64 v[31:32], v[81:82], s[14:15], -v[95:96]
	v_mul_f64_e32 v[99:100], s[16:17], v[75:76]
	v_add_f64_e32 v[51:52], v[52:53], v[33:34]
	v_add_f64_e32 v[53:54], v[54:55], v[35:36]
	v_fma_f64 v[35:36], v[83:84], s[2:3], v[125:126]
	v_mul_f64_e32 v[55:56], s[36:37], v[79:80]
	v_add_f64_e32 v[29:30], v[31:32], v[29:30]
	v_fma_f64 v[31:32], v[83:84], s[14:15], v[97:98]
	v_fma_f64 v[33:34], v[69:70], s[2:3], -v[99:100]
	v_add_f64_e32 v[35:36], v[35:36], v[47:48]
	s_delay_alu instid0(VALU_DEP_3) | instskip(NEXT) | instid1(VALU_DEP_3)
	v_add_f64_e32 v[31:32], v[31:32], v[37:38]
	v_add_f64_e32 v[29:30], v[33:34], v[29:30]
	v_fma_f64 v[33:34], v[71:72], s[2:3], v[109:110]
	v_fma_f64 v[37:38], v[69:70], s[14:15], -v[127:128]
	s_delay_alu instid0(VALU_DEP_2) | instskip(SKIP_1) | instid1(VALU_DEP_1)
	v_add_f64_e32 v[31:32], v[33:34], v[31:32]
	v_fma_f64 v[33:34], v[12:13], s[12:13], -v[111:112]
	v_add_f64_e32 v[29:30], v[33:34], v[29:30]
	v_fma_f64 v[33:34], v[14:15], s[12:13], v[113:114]
	s_delay_alu instid0(VALU_DEP_1) | instskip(SKIP_1) | instid1(VALU_DEP_1)
	v_add_f64_e32 v[31:32], v[33:34], v[31:32]
	v_fma_f64 v[33:34], v[8:9], s[18:19], -v[115:116]
	v_add_f64_e32 v[29:30], v[33:34], v[29:30]
	v_fma_f64 v[33:34], v[10:11], s[18:19], v[117:118]
	s_delay_alu instid0(VALU_DEP_1) | instskip(SKIP_1) | instid1(VALU_DEP_1)
	;; [unrolled: 5-line block ×3, first 2 shown]
	v_add_f64_e32 v[31:32], v[33:34], v[31:32]
	v_fma_f64 v[33:34], v[81:82], s[2:3], -v[123:124]
	v_add_f64_e32 v[33:34], v[33:34], v[39:40]
	v_fma_f64 v[39:40], v[83:84], s[12:13], v[145:146]
	s_delay_alu instid0(VALU_DEP_2) | instskip(SKIP_1) | instid1(VALU_DEP_3)
	v_add_f64_e32 v[33:34], v[37:38], v[33:34]
	v_fma_f64 v[37:38], v[71:72], s[14:15], v[129:130]
	v_add_f64_e32 v[39:40], v[39:40], v[49:50]
	v_mul_f64_e32 v[49:50], s[34:35], v[79:80]
	v_mul_f64_e32 v[79:80], s[28:29], v[79:80]
	s_delay_alu instid0(VALU_DEP_4) | instskip(SKIP_1) | instid1(VALU_DEP_1)
	v_add_f64_e32 v[35:36], v[37:38], v[35:36]
	v_fma_f64 v[37:38], v[12:13], s[30:31], -v[131:132]
	v_add_f64_e32 v[33:34], v[37:38], v[33:34]
	v_fma_f64 v[37:38], v[14:15], s[30:31], v[133:134]
	s_delay_alu instid0(VALU_DEP_1) | instskip(SKIP_1) | instid1(VALU_DEP_1)
	v_add_f64_e32 v[35:36], v[37:38], v[35:36]
	v_fma_f64 v[37:38], v[8:9], s[20:21], -v[135:136]
	v_add_f64_e32 v[33:34], v[37:38], v[33:34]
	v_fma_f64 v[37:38], v[10:11], s[20:21], v[137:138]
	s_delay_alu instid0(VALU_DEP_1) | instskip(SKIP_1) | instid1(VALU_DEP_1)
	v_add_f64_e32 v[35:36], v[37:38], v[35:36]
	v_fma_f64 v[37:38], v[0:1], s[12:13], -v[139:140]
	v_add_f64_e32 v[33:34], v[37:38], v[33:34]
	v_fma_f64 v[37:38], v[2:3], s[12:13], v[141:142]
	s_delay_alu instid0(VALU_DEP_1) | instskip(SKIP_1) | instid1(VALU_DEP_1)
	v_add_f64_e32 v[35:36], v[37:38], v[35:36]
	v_fma_f64 v[37:38], v[81:82], s[12:13], -v[143:144]
	v_add_f64_e32 v[37:38], v[37:38], v[41:42]
	v_fma_f64 v[41:42], v[69:70], s[30:31], -v[147:148]
	s_delay_alu instid0(VALU_DEP_1) | instskip(SKIP_1) | instid1(VALU_DEP_1)
	v_add_f64_e32 v[37:38], v[41:42], v[37:38]
	v_fma_f64 v[41:42], v[71:72], s[30:31], v[149:150]
	v_add_f64_e32 v[39:40], v[41:42], v[39:40]
	v_fma_f64 v[41:42], v[12:13], s[18:19], -v[151:152]
	s_delay_alu instid0(VALU_DEP_1) | instskip(SKIP_1) | instid1(VALU_DEP_1)
	v_add_f64_e32 v[37:38], v[41:42], v[37:38]
	v_fma_f64 v[41:42], v[14:15], s[18:19], v[153:154]
	v_add_f64_e32 v[39:40], v[41:42], v[39:40]
	v_fma_f64 v[41:42], v[8:9], s[2:3], -v[155:156]
	s_delay_alu instid0(VALU_DEP_1) | instskip(SKIP_1) | instid1(VALU_DEP_1)
	v_add_f64_e32 v[37:38], v[41:42], v[37:38]
	v_fma_f64 v[41:42], v[10:11], s[2:3], v[157:158]
	v_add_f64_e32 v[39:40], v[41:42], v[39:40]
	v_fma_f64 v[41:42], v[0:1], s[20:21], -v[159:160]
	s_delay_alu instid0(VALU_DEP_1) | instskip(SKIP_1) | instid1(VALU_DEP_1)
	v_add_f64_e32 v[37:38], v[41:42], v[37:38]
	v_fma_f64 v[41:42], v[2:3], s[20:21], v[161:162]
	v_add_f64_e32 v[39:40], v[41:42], v[39:40]
	v_fma_f64 v[41:42], v[81:82], s[18:19], -v[55:56]
	s_delay_alu instid0(VALU_DEP_1) | instskip(SKIP_1) | instid1(VALU_DEP_1)
	v_add_f64_e32 v[41:42], v[41:42], v[43:44]
	v_fma_f64 v[43:44], v[83:84], s[18:19], v[163:164]
	v_add_f64_e32 v[43:44], v[43:44], v[59:60]
	v_mul_f64_e32 v[59:60], s[28:29], v[75:76]
	s_delay_alu instid0(VALU_DEP_1) | instskip(SKIP_1) | instid1(VALU_DEP_2)
	v_fma_f64 v[47:48], v[69:70], s[20:21], -v[59:60]
	v_fma_f64 v[59:60], v[69:70], s[20:21], v[59:60]
	v_add_f64_e32 v[41:42], v[47:48], v[41:42]
	v_fma_f64 v[47:48], v[71:72], s[20:21], v[165:166]
	s_delay_alu instid0(VALU_DEP_1) | instskip(SKIP_1) | instid1(VALU_DEP_1)
	v_add_f64_e32 v[43:44], v[47:48], v[43:44]
	v_fma_f64 v[47:48], v[12:13], s[2:3], -v[167:168]
	v_add_f64_e32 v[41:42], v[47:48], v[41:42]
	v_fma_f64 v[47:48], v[14:15], s[2:3], v[169:170]
	s_delay_alu instid0(VALU_DEP_1) | instskip(SKIP_1) | instid1(VALU_DEP_1)
	v_add_f64_e32 v[43:44], v[47:48], v[43:44]
	v_fma_f64 v[47:48], v[8:9], s[30:31], -v[171:172]
	;; [unrolled: 5-line block ×3, first 2 shown]
	v_add_f64_e32 v[41:42], v[47:48], v[41:42]
	v_fma_f64 v[47:48], v[2:3], s[14:15], v[177:178]
	s_delay_alu instid0(VALU_DEP_1) | instskip(SKIP_2) | instid1(VALU_DEP_2)
	v_add_f64_e32 v[43:44], v[47:48], v[43:44]
	v_fma_f64 v[47:48], v[81:82], s[30:31], -v[49:50]
	v_fma_f64 v[49:50], v[81:82], s[30:31], v[49:50]
	v_add_f64_e32 v[45:46], v[47:48], v[45:46]
	v_fma_f64 v[47:48], v[83:84], s[30:31], v[179:180]
	s_delay_alu instid0(VALU_DEP_3) | instskip(SKIP_1) | instid1(VALU_DEP_3)
	v_add_f64_e32 v[49:50], v[49:50], v[51:52]
	v_fma_f64 v[51:52], v[83:84], s[30:31], -v[179:180]
	v_add_f64_e32 v[47:48], v[47:48], v[61:62]
	v_mul_f64_e32 v[61:62], s[22:23], v[75:76]
	s_delay_alu instid0(VALU_DEP_3) | instskip(SKIP_1) | instid1(VALU_DEP_3)
	v_add_f64_e32 v[51:52], v[51:52], v[53:54]
	v_mul_f64_e32 v[75:76], s[26:27], v[75:76]
	v_fma_f64 v[181:182], v[69:70], s[12:13], -v[61:62]
	v_fma_f64 v[53:54], v[69:70], s[12:13], v[61:62]
	s_delay_alu instid0(VALU_DEP_2) | instskip(SKIP_1) | instid1(VALU_DEP_3)
	v_add_f64_e32 v[45:46], v[181:182], v[45:46]
	v_mul_f64_e32 v[181:182], s[22:23], v[73:74]
	v_add_f64_e32 v[49:50], v[53:54], v[49:50]
	v_mul_f64_e32 v[73:74], s[26:27], v[73:74]
	s_delay_alu instid0(VALU_DEP_3) | instskip(SKIP_1) | instid1(VALU_DEP_2)
	v_fma_f64 v[183:184], v[71:72], s[12:13], v[181:182]
	v_fma_f64 v[53:54], v[71:72], s[12:13], -v[181:182]
	v_add_f64_e32 v[47:48], v[183:184], v[47:48]
	v_mul_f64_e32 v[183:184], s[40:41], v[22:23]
	s_delay_alu instid0(VALU_DEP_3) | instskip(SKIP_1) | instid1(VALU_DEP_3)
	v_add_f64_e32 v[51:52], v[53:54], v[51:52]
	v_mul_f64_e32 v[22:23], s[24:25], v[22:23]
	v_fma_f64 v[185:186], v[12:13], s[20:21], -v[183:184]
	v_fma_f64 v[53:54], v[12:13], s[20:21], v[183:184]
	s_delay_alu instid0(VALU_DEP_2) | instskip(SKIP_1) | instid1(VALU_DEP_3)
	v_add_f64_e32 v[45:46], v[185:186], v[45:46]
	v_mul_f64_e32 v[185:186], s[40:41], v[20:21]
	v_add_f64_e32 v[49:50], v[53:54], v[49:50]
	v_mul_f64_e32 v[20:21], s[24:25], v[20:21]
	s_delay_alu instid0(VALU_DEP_3) | instskip(SKIP_1) | instid1(VALU_DEP_2)
	v_fma_f64 v[187:188], v[14:15], s[20:21], v[185:186]
	;; [unrolled: 15-line block ×3, first 2 shown]
	v_fma_f64 v[53:54], v[10:11], s[14:15], -v[189:190]
	v_add_f64_e32 v[47:48], v[191:192], v[47:48]
	v_mul_f64_e32 v[191:192], s[36:37], v[6:7]
	s_delay_alu instid0(VALU_DEP_3) | instskip(NEXT) | instid1(VALU_DEP_2)
	v_add_f64_e32 v[51:52], v[53:54], v[51:52]
	v_fma_f64 v[53:54], v[0:1], s[18:19], v[191:192]
	v_fma_f64 v[193:194], v[0:1], s[18:19], -v[191:192]
	s_delay_alu instid0(VALU_DEP_2) | instskip(SKIP_2) | instid1(VALU_DEP_4)
	v_add_f64_e32 v[49:50], v[53:54], v[49:50]
	v_fma_f64 v[53:54], v[81:82], s[18:19], v[55:56]
	v_fma_f64 v[55:56], v[83:84], s[18:19], -v[163:164]
	v_add_f64_e32 v[45:46], v[193:194], v[45:46]
	v_mul_f64_e32 v[193:194], s[36:37], v[4:5]
	s_delay_alu instid0(VALU_DEP_4) | instskip(NEXT) | instid1(VALU_DEP_4)
	v_add_f64_e32 v[53:54], v[53:54], v[93:94]
	v_add_f64_e32 v[55:56], v[55:56], v[87:88]
	v_fma_f64 v[87:88], v[2:3], s[30:31], -v[121:122]
	s_delay_alu instid0(VALU_DEP_4) | instskip(SKIP_3) | instid1(VALU_DEP_4)
	v_fma_f64 v[61:62], v[2:3], s[18:19], -v[193:194]
	v_fma_f64 v[195:196], v[2:3], s[18:19], v[193:194]
	v_add_f64_e32 v[53:54], v[59:60], v[53:54]
	v_fma_f64 v[59:60], v[71:72], s[20:21], -v[165:166]
	v_add_f64_e32 v[51:52], v[61:62], v[51:52]
	v_fma_f64 v[61:62], v[2:3], s[14:15], -v[177:178]
	v_add_f64_e32 v[47:48], v[195:196], v[47:48]
	s_delay_alu instid0(VALU_DEP_4) | instskip(SKIP_1) | instid1(VALU_DEP_1)
	v_add_f64_e32 v[55:56], v[59:60], v[55:56]
	v_fma_f64 v[59:60], v[12:13], s[2:3], v[167:168]
	v_add_f64_e32 v[53:54], v[59:60], v[53:54]
	v_fma_f64 v[59:60], v[14:15], s[2:3], -v[169:170]
	s_delay_alu instid0(VALU_DEP_1) | instskip(SKIP_1) | instid1(VALU_DEP_1)
	v_add_f64_e32 v[55:56], v[59:60], v[55:56]
	v_fma_f64 v[59:60], v[8:9], s[30:31], v[171:172]
	v_add_f64_e32 v[53:54], v[59:60], v[53:54]
	v_fma_f64 v[59:60], v[10:11], s[30:31], -v[173:174]
	s_delay_alu instid0(VALU_DEP_1) | instskip(SKIP_1) | instid1(VALU_DEP_2)
	v_add_f64_e32 v[55:56], v[59:60], v[55:56]
	v_fma_f64 v[59:60], v[0:1], s[14:15], v[175:176]
	v_add_f64_e32 v[55:56], v[61:62], v[55:56]
	s_delay_alu instid0(VALU_DEP_2) | instskip(SKIP_2) | instid1(VALU_DEP_2)
	v_add_f64_e32 v[53:54], v[59:60], v[53:54]
	v_fma_f64 v[59:60], v[81:82], s[12:13], v[143:144]
	v_fma_f64 v[61:62], v[69:70], s[30:31], v[147:148]
	v_add_f64_e32 v[57:58], v[59:60], v[57:58]
	v_fma_f64 v[59:60], v[83:84], s[12:13], -v[145:146]
	s_delay_alu instid0(VALU_DEP_2) | instskip(NEXT) | instid1(VALU_DEP_2)
	v_add_f64_e32 v[57:58], v[61:62], v[57:58]
	v_add_f64_e32 v[59:60], v[59:60], v[85:86]
	v_fma_f64 v[61:62], v[71:72], s[30:31], -v[149:150]
	v_fma_f64 v[85:86], v[2:3], s[20:21], -v[161:162]
	s_delay_alu instid0(VALU_DEP_2) | instskip(SKIP_1) | instid1(VALU_DEP_1)
	v_add_f64_e32 v[59:60], v[61:62], v[59:60]
	v_fma_f64 v[61:62], v[12:13], s[18:19], v[151:152]
	v_add_f64_e32 v[57:58], v[61:62], v[57:58]
	v_fma_f64 v[61:62], v[14:15], s[18:19], -v[153:154]
                                        ; implicit-def: $vgpr152_vgpr153
	s_delay_alu instid0(VALU_DEP_1) | instskip(SKIP_1) | instid1(VALU_DEP_1)
	v_add_f64_e32 v[59:60], v[61:62], v[59:60]
	v_fma_f64 v[61:62], v[8:9], s[2:3], v[155:156]
	v_add_f64_e32 v[57:58], v[61:62], v[57:58]
	v_fma_f64 v[61:62], v[10:11], s[2:3], -v[157:158]
                                        ; implicit-def: $vgpr156_vgpr157
	s_delay_alu instid0(VALU_DEP_1) | instskip(SKIP_1) | instid1(VALU_DEP_2)
	v_add_f64_e32 v[59:60], v[61:62], v[59:60]
	v_fma_f64 v[61:62], v[0:1], s[20:21], v[159:160]
                                        ; implicit-def: $vgpr160_vgpr161
	v_add_f64_e32 v[59:60], v[85:86], v[59:60]
	s_delay_alu instid0(VALU_DEP_2) | instskip(SKIP_2) | instid1(VALU_DEP_2)
	v_add_f64_e32 v[57:58], v[61:62], v[57:58]
	v_fma_f64 v[61:62], v[81:82], s[2:3], v[123:124]
	v_fma_f64 v[85:86], v[69:70], s[2:3], v[99:100]
	v_add_f64_e32 v[61:62], v[61:62], v[64:65]
	v_fma_f64 v[63:64], v[83:84], s[2:3], -v[125:126]
	s_delay_alu instid0(VALU_DEP_1) | instskip(SKIP_2) | instid1(VALU_DEP_2)
	v_add_f64_e32 v[63:64], v[63:64], v[66:67]
	v_fma_f64 v[65:66], v[69:70], s[14:15], v[127:128]
	v_fma_f64 v[67:68], v[2:3], s[12:13], -v[141:142]
	v_add_f64_e32 v[61:62], v[65:66], v[61:62]
	v_fma_f64 v[65:66], v[71:72], s[14:15], -v[129:130]
	s_delay_alu instid0(VALU_DEP_1) | instskip(SKIP_1) | instid1(VALU_DEP_1)
	v_add_f64_e32 v[63:64], v[65:66], v[63:64]
	v_fma_f64 v[65:66], v[12:13], s[30:31], v[131:132]
	v_add_f64_e32 v[61:62], v[65:66], v[61:62]
	v_fma_f64 v[65:66], v[14:15], s[30:31], -v[133:134]
	s_delay_alu instid0(VALU_DEP_1) | instskip(SKIP_1) | instid1(VALU_DEP_1)
	v_add_f64_e32 v[63:64], v[65:66], v[63:64]
	v_fma_f64 v[65:66], v[8:9], s[20:21], v[135:136]
	v_add_f64_e32 v[61:62], v[65:66], v[61:62]
	v_fma_f64 v[65:66], v[10:11], s[20:21], -v[137:138]
	s_delay_alu instid0(VALU_DEP_1) | instskip(SKIP_1) | instid1(VALU_DEP_2)
	v_add_f64_e32 v[63:64], v[65:66], v[63:64]
	v_fma_f64 v[65:66], v[0:1], s[12:13], v[139:140]
	v_add_f64_e32 v[63:64], v[67:68], v[63:64]
	s_delay_alu instid0(VALU_DEP_2) | instskip(SKIP_2) | instid1(VALU_DEP_2)
	v_add_f64_e32 v[61:62], v[65:66], v[61:62]
	v_fma_f64 v[65:66], v[81:82], s[14:15], v[95:96]
	v_fma_f64 v[67:68], v[83:84], s[14:15], -v[97:98]
	v_add_f64_e32 v[65:66], v[65:66], v[91:92]
	s_delay_alu instid0(VALU_DEP_2) | instskip(SKIP_1) | instid1(VALU_DEP_3)
	v_add_f64_e32 v[67:68], v[67:68], v[107:108]
	v_mul_f64_e32 v[91:92], s[16:17], v[4:5]
	v_add_f64_e32 v[65:66], v[85:86], v[65:66]
	v_fma_f64 v[85:86], v[71:72], s[2:3], -v[109:110]
	s_delay_alu instid0(VALU_DEP_1) | instskip(SKIP_1) | instid1(VALU_DEP_1)
	v_add_f64_e32 v[67:68], v[85:86], v[67:68]
	v_fma_f64 v[85:86], v[12:13], s[12:13], v[111:112]
	v_add_f64_e32 v[65:66], v[85:86], v[65:66]
	v_fma_f64 v[85:86], v[14:15], s[12:13], -v[113:114]
	s_delay_alu instid0(VALU_DEP_1) | instskip(SKIP_1) | instid1(VALU_DEP_1)
	v_add_f64_e32 v[67:68], v[85:86], v[67:68]
	v_fma_f64 v[85:86], v[8:9], s[18:19], v[115:116]
	v_add_f64_e32 v[65:66], v[85:86], v[65:66]
	v_fma_f64 v[85:86], v[10:11], s[18:19], -v[117:118]
	s_delay_alu instid0(VALU_DEP_1) | instskip(SKIP_1) | instid1(VALU_DEP_2)
	v_add_f64_e32 v[67:68], v[85:86], v[67:68]
	v_fma_f64 v[85:86], v[0:1], s[30:31], v[119:120]
	v_add_f64_e32 v[67:68], v[87:88], v[67:68]
	s_delay_alu instid0(VALU_DEP_2) | instskip(SKIP_4) | instid1(VALU_DEP_4)
	v_add_f64_e32 v[65:66], v[85:86], v[65:66]
	v_fma_f64 v[85:86], v[81:82], s[20:21], -v[79:80]
	v_fma_f64 v[87:88], v[83:84], s[20:21], v[77:78]
	v_fma_f64 v[79:80], v[81:82], s[20:21], v[79:80]
	v_fma_f64 v[77:78], v[83:84], s[20:21], -v[77:78]
	v_add_f64_e32 v[85:86], v[85:86], v[101:102]
	s_delay_alu instid0(VALU_DEP_4) | instskip(SKIP_3) | instid1(VALU_DEP_3)
	v_add_f64_e32 v[87:88], v[87:88], v[89:90]
	v_fma_f64 v[89:90], v[69:70], s[18:19], -v[75:76]
	v_fma_f64 v[69:70], v[69:70], s[18:19], v[75:76]
	v_add_f64_e32 v[75:76], v[77:78], v[105:106]
	v_add_f64_e32 v[85:86], v[89:90], v[85:86]
	v_fma_f64 v[89:90], v[71:72], s[18:19], v[73:74]
	v_fma_f64 v[71:72], v[71:72], s[18:19], -v[73:74]
	v_add_f64_e32 v[73:74], v[79:80], v[103:104]
	s_delay_alu instid0(VALU_DEP_3) | instskip(SKIP_3) | instid1(VALU_DEP_3)
	v_add_f64_e32 v[87:88], v[89:90], v[87:88]
	v_fma_f64 v[89:90], v[12:13], s[14:15], -v[22:23]
	v_fma_f64 v[12:13], v[12:13], s[14:15], v[22:23]
	v_add_f64_e32 v[22:23], v[71:72], v[75:76]
	v_add_f64_e32 v[85:86], v[89:90], v[85:86]
	v_fma_f64 v[89:90], v[14:15], s[14:15], v[20:21]
	v_fma_f64 v[14:15], v[14:15], s[14:15], -v[20:21]
	v_add_f64_e32 v[20:21], v[69:70], v[73:74]
	s_delay_alu instid0(VALU_DEP_3) | instskip(SKIP_2) | instid1(VALU_DEP_4)
	v_add_f64_e32 v[87:88], v[89:90], v[87:88]
	v_fma_f64 v[89:90], v[8:9], s[12:13], -v[18:19]
	v_fma_f64 v[8:9], v[8:9], s[12:13], v[18:19]
	v_add_f64_e32 v[12:13], v[12:13], v[20:21]
	v_add_f64_e32 v[14:15], v[14:15], v[22:23]
	s_delay_alu instid0(VALU_DEP_4) | instskip(SKIP_3) | instid1(VALU_DEP_3)
	v_add_f64_e32 v[85:86], v[89:90], v[85:86]
	v_fma_f64 v[89:90], v[10:11], s[12:13], v[16:17]
	v_fma_f64 v[10:11], v[10:11], s[12:13], -v[16:17]
	v_add_f64_e32 v[8:9], v[8:9], v[12:13]
	v_add_f64_e32 v[87:88], v[89:90], v[87:88]
	v_mul_f64_e32 v[89:90], s[16:17], v[6:7]
	v_fma_f64 v[6:7], v[2:3], s[2:3], v[91:92]
	v_fma_f64 v[2:3], v[2:3], s[2:3], -v[91:92]
	v_add_f64_e32 v[10:11], v[10:11], v[14:15]
	s_delay_alu instid0(VALU_DEP_4) | instskip(SKIP_2) | instid1(VALU_DEP_4)
	v_fma_f64 v[4:5], v[0:1], s[2:3], -v[89:90]
	v_fma_f64 v[0:1], v[0:1], s[2:3], v[89:90]
	v_add_f64_e32 v[6:7], v[6:7], v[87:88]
	v_add_f64_e32 v[102:103], v[2:3], v[10:11]
	s_load_b64 s[2:3], s[0:1], 0x38
	s_delay_alu instid0(VALU_DEP_4) | instskip(NEXT) | instid1(VALU_DEP_4)
	v_add_f64_e32 v[4:5], v[4:5], v[85:86]
	v_add_f64_e32 v[100:101], v[0:1], v[8:9]
	v_mul_lo_u16 v0, v24, 13
	s_delay_alu instid0(VALU_DEP_1) | instskip(NEXT) | instid1(VALU_DEP_1)
	v_and_b32_e32 v0, 0xffff, v0
	v_lshlrev_b32_e32 v252, 4, v0
	ds_store_b128 v252, v[29:32] offset:32
	ds_store_b128 v252, v[33:36] offset:48
	;; [unrolled: 1-line block ×11, first 2 shown]
	ds_store_b128 v252, v[25:28]
	ds_store_b128 v252, v[100:103] offset:192
	global_wb scope:SCOPE_SE
	s_wait_dscnt 0x0
	s_wait_kmcnt 0x0
	s_barrier_signal -1
	s_barrier_wait -1
	global_inv scope:SCOPE_SE
	ds_load_b128 v[112:115], v255
	ds_load_b128 v[104:107], v255 offset:2496
	ds_load_b128 v[132:135], v255 offset:16224
	;; [unrolled: 1-line block ×11, first 2 shown]
	s_and_saveexec_b32 s0, vcc_lo
	s_cbranch_execz .LBB0_3
; %bb.2:
	ds_load_b128 v[100:103], v255 offset:7488
	ds_load_b128 v[152:155], v255 offset:15600
	;; [unrolled: 1-line block ×4, first 2 shown]
.LBB0_3:
	s_wait_alu 0xfffe
	s_or_b32 exec_lo, exec_lo, s0
	v_add_co_u32 v0, null, 0x9c, v200
	v_and_b32_e32 v3, 0xff, v200
	v_add_co_u32 v1, null, 0x138, v200
	v_add_nc_u16 v2, v200, 0x1d4
	s_delay_alu instid0(VALU_DEP_4) | instskip(NEXT) | instid1(VALU_DEP_4)
	v_and_b32_e32 v4, 0xffff, v0
	v_mul_lo_u16 v3, 0x4f, v3
	s_delay_alu instid0(VALU_DEP_4) | instskip(NEXT) | instid1(VALU_DEP_4)
	v_and_b32_e32 v6, 0xffff, v1
	v_and_b32_e32 v7, 0xffff, v2
	s_delay_alu instid0(VALU_DEP_4) | instskip(NEXT) | instid1(VALU_DEP_4)
	v_mul_u32_u24_e32 v5, 0x4ec5, v4
	v_lshrrev_b16 v68, 10, v3
	s_delay_alu instid0(VALU_DEP_4) | instskip(NEXT) | instid1(VALU_DEP_4)
	v_mul_u32_u24_e32 v4, 0x4ec5, v6
	v_mul_u32_u24_e32 v3, 0x4ec5, v7
	s_delay_alu instid0(VALU_DEP_4) | instskip(NEXT) | instid1(VALU_DEP_4)
	v_lshrrev_b32_e32 v69, 18, v5
	v_mul_lo_u16 v6, v68, 13
	s_delay_alu instid0(VALU_DEP_4) | instskip(NEXT) | instid1(VALU_DEP_4)
	v_lshrrev_b32_e32 v70, 18, v4
	v_lshrrev_b32_e32 v9, 18, v3
	s_delay_alu instid0(VALU_DEP_4) | instskip(NEXT) | instid1(VALU_DEP_4)
	v_mul_lo_u16 v7, v69, 13
	v_sub_nc_u16 v6, v200, v6
	s_delay_alu instid0(VALU_DEP_4)
	v_mul_lo_u16 v8, v70, 13
	scratch_store_b32 off, v9, off offset:456 ; 4-byte Folded Spill
	v_mul_lo_u16 v9, v9, 13
	v_sub_nc_u16 v72, v0, v7
	v_and_b32_e32 v71, 0xff, v6
	v_sub_nc_u16 v73, v1, v8
	s_delay_alu instid0(VALU_DEP_4) | instskip(NEXT) | instid1(VALU_DEP_4)
	v_sub_nc_u16 v10, v2, v9
	v_mul_lo_u16 v8, v72, 48
	s_delay_alu instid0(VALU_DEP_4) | instskip(NEXT) | instid1(VALU_DEP_4)
	v_mad_co_u64_u32 v[6:7], null, v71, 48, s[10:11]
	v_mul_lo_u16 v9, v73, 48
	s_delay_alu instid0(VALU_DEP_4) | instskip(NEXT) | instid1(VALU_DEP_4)
	v_mul_lo_u16 v12, v10, 48
	v_and_b32_e32 v8, 0xffff, v8
	scratch_store_b32 off, v10, off offset:220 ; 4-byte Folded Spill
	s_clause 0x1
	global_load_b128 v[84:87], v[6:7], off offset:16
	global_load_b128 v[96:99], v[6:7], off
	v_and_b32_e32 v10, 0xffff, v9
	global_load_b128 v[92:95], v[6:7], off offset:32
	v_and_b32_e32 v6, 0xffff, v12
	v_add_co_u32 v8, s0, s10, v8
	s_wait_alu 0xf1ff
	v_add_co_ci_u32_e64 v9, null, s11, 0, s0
	v_add_co_u32 v10, s0, s10, v10
	s_wait_alu 0xf1ff
	v_add_co_ci_u32_e64 v11, null, s11, 0, s0
	;; [unrolled: 3-line block ×3, first 2 shown]
	s_clause 0x8
	global_load_b128 v[88:91], v[8:9], off
	global_load_b128 v[164:167], v[8:9], off offset:32
	global_load_b128 v[80:83], v[8:9], off offset:16
	global_load_b128 v[74:77], v[10:11], off
	global_load_b128 v[58:61], v[10:11], off offset:16
	global_load_b128 v[54:57], v[10:11], off offset:32
	;; [unrolled: 3-line block ×3, first 2 shown]
	s_wait_loadcnt_dscnt 0xb09
	v_mul_f64_e32 v[10:11], v[134:135], v[86:87]
	s_wait_loadcnt_dscnt 0xa07
	v_mul_f64_e32 v[6:7], v[146:147], v[98:99]
	v_mul_f64_e32 v[8:9], v[144:145], v[98:99]
	;; [unrolled: 1-line block ×3, first 2 shown]
	s_wait_loadcnt_dscnt 0x903
	v_mul_f64_e32 v[14:15], v[150:151], v[94:95]
	v_mul_f64_e32 v[16:17], v[148:149], v[94:95]
	s_wait_loadcnt_dscnt 0x402
	v_mul_f64_e32 v[34:35], v[126:127], v[60:61]
	v_mul_f64_e32 v[36:37], v[124:125], v[60:61]
	;; [unrolled: 1-line block ×4, first 2 shown]
	s_wait_loadcnt 0x2
	v_mul_f64_e32 v[42:43], v[154:155], v[174:175]
	v_mul_f64_e32 v[44:45], v[152:153], v[174:175]
	s_wait_loadcnt_dscnt 0x101
	v_mul_f64_e32 v[46:47], v[158:159], v[170:171]
	v_mul_f64_e32 v[48:49], v[156:157], v[170:171]
	s_wait_loadcnt_dscnt 0x0
	v_mul_f64_e32 v[50:51], v[162:163], v[64:65]
	v_mul_f64_e32 v[52:53], v[160:161], v[64:65]
	;; [unrolled: 1-line block ×10, first 2 shown]
	s_clause 0x5
	scratch_store_b128 off, v[74:77], off offset:276
	scratch_store_b128 off, v[62:65], off offset:260
	;; [unrolled: 1-line block ×6, first 2 shown]
	v_fma_f64 v[10:11], v[132:133], v[84:85], -v[10:11]
	v_fma_f64 v[6:7], v[144:145], v[96:97], -v[6:7]
	v_fma_f64 v[8:9], v[146:147], v[96:97], v[8:9]
	v_fma_f64 v[12:13], v[134:135], v[84:85], v[12:13]
	v_fma_f64 v[14:15], v[148:149], v[92:93], -v[14:15]
	v_fma_f64 v[16:17], v[150:151], v[92:93], v[16:17]
	scratch_store_b128 off, v[172:175], off offset:328 ; 16-byte Folded Spill
	global_wb scope:SCOPE_SE
	s_wait_storecnt 0x0
	s_barrier_signal -1
	s_barrier_wait -1
	global_inv scope:SCOPE_SE
	v_fma_f64 v[34:35], v[124:125], v[58:59], -v[34:35]
	v_fma_f64 v[36:37], v[126:127], v[58:59], v[36:37]
	v_fma_f64 v[22:23], v[116:117], v[80:81], -v[22:23]
	v_fma_f64 v[24:25], v[118:119], v[80:81], v[24:25]
	;; [unrolled: 2-line block ×9, first 2 shown]
	v_add_f64_e64 v[54:55], v[112:113], -v[10:11]
	v_add_f64_e64 v[56:57], v[114:115], -v[12:13]
	;; [unrolled: 1-line block ×16, first 2 shown]
	v_fma_f64 v[38:39], v[112:113], 2.0, -v[54:55]
	v_fma_f64 v[40:41], v[114:115], 2.0, -v[56:57]
	;; [unrolled: 1-line block ×4, first 2 shown]
	v_add_f64_e64 v[6:7], v[54:55], -v[12:13]
	v_add_f64_e32 v[8:9], v[56:57], v[10:11]
	v_fma_f64 v[46:47], v[104:105], 2.0, -v[58:59]
	v_fma_f64 v[48:49], v[106:107], 2.0, -v[60:61]
	;; [unrolled: 1-line block ×8, first 2 shown]
	v_add_f64_e64 v[136:137], v[66:67], -v[36:37]
	v_add_f64_e32 v[138:139], v[116:117], v[34:35]
	v_fma_f64 v[30:31], v[30:31], 2.0, -v[22:23]
	v_fma_f64 v[32:33], v[32:33], 2.0, -v[24:25]
	;; [unrolled: 1-line block ×4, first 2 shown]
	v_add_f64_e64 v[10:11], v[58:59], -v[16:17]
	v_add_f64_e32 v[12:13], v[60:61], v[14:15]
	v_add_f64_e64 v[18:19], v[62:63], -v[24:25]
	v_add_f64_e32 v[20:21], v[64:65], v[22:23]
	v_add_f64_e64 v[14:15], v[38:39], -v[26:27]
	v_add_f64_e64 v[16:17], v[40:41], -v[28:29]
	;; [unrolled: 1-line block ×4, first 2 shown]
	v_fma_f64 v[168:169], v[66:67], 2.0, -v[136:137]
	v_fma_f64 v[170:171], v[116:117], 2.0, -v[138:139]
	v_add_f64_e64 v[26:27], v[104:105], -v[30:31]
	v_add_f64_e64 v[28:29], v[106:107], -v[32:33]
	v_fma_f64 v[30:31], v[54:55], 2.0, -v[6:7]
	v_fma_f64 v[32:33], v[56:57], 2.0, -v[8:9]
	v_add_f64_e64 v[22:23], v[46:47], -v[50:51]
	v_add_f64_e64 v[24:25], v[48:49], -v[52:53]
	v_fma_f64 v[34:35], v[58:59], 2.0, -v[10:11]
	v_fma_f64 v[36:37], v[60:61], 2.0, -v[12:13]
	;; [unrolled: 1-line block ×4, first 2 shown]
	v_and_b32_e32 v50, 0xffff, v68
	v_mad_u16 v51, v69, 52, v72
	v_mad_u16 v52, v70, 52, v73
	s_delay_alu instid0(VALU_DEP_3)
	v_mul_u32_u24_e32 v50, 52, v50
	v_fma_f64 v[38:39], v[38:39], 2.0, -v[14:15]
	v_fma_f64 v[40:41], v[40:41], 2.0, -v[16:17]
	v_and_b32_e32 v51, 0xffff, v51
	v_and_b32_e32 v52, 0xffff, v52
	v_add_lshl_u32 v53, v50, v71, 4
	ds_store_b128 v53, v[14:17] offset:416
	ds_store_b128 v53, v[6:9] offset:624
	ds_store_b128 v53, v[38:41]
	v_fma_f64 v[116:117], v[108:109], 2.0, -v[160:161]
	v_fma_f64 v[118:119], v[110:111], 2.0, -v[162:163]
	;; [unrolled: 1-line block ×6, first 2 shown]
	v_lshlrev_b32_e32 v51, 4, v51
	v_lshlrev_b32_e32 v50, 4, v52
	scratch_store_b32 off, v53, off offset:344 ; 4-byte Folded Spill
	ds_store_b128 v53, v[30:33] offset:208
	ds_store_b128 v51, v[22:25] offset:416
	;; [unrolled: 1-line block ×3, first 2 shown]
	ds_store_b128 v51, v[46:49]
	scratch_store_b32 off, v51, off offset:324 ; 4-byte Folded Spill
	ds_store_b128 v51, v[34:37] offset:208
	ds_store_b128 v50, v[100:103]
	ds_store_b128 v50, v[42:45] offset:208
	ds_store_b128 v50, v[26:29] offset:416
	scratch_store_b32 off, v50, off offset:224 ; 4-byte Folded Spill
	ds_store_b128 v50, v[18:21] offset:624
	s_and_saveexec_b32 s0, vcc_lo
	s_cbranch_execz .LBB0_5
; %bb.4:
	scratch_load_b32 v7, off, off offset:220 ; 4-byte Folded Reload
	v_lshrrev_b32_e32 v6, 18, v3
	s_wait_loadcnt 0x0
	s_delay_alu instid0(VALU_DEP_1) | instskip(NEXT) | instid1(VALU_DEP_1)
	v_mad_u16 v6, v6, 52, v7
	v_and_b32_e32 v6, 0xffff, v6
	s_delay_alu instid0(VALU_DEP_1)
	v_lshlrev_b32_e32 v6, 4, v6
	ds_store_b128 v6, v[116:119]
	ds_store_b128 v6, v[168:171] offset:208
	ds_store_b128 v6, v[160:163] offset:416
	;; [unrolled: 1-line block ×3, first 2 shown]
.LBB0_5:
	s_wait_alu 0xfffe
	s_or_b32 exec_lo, exec_lo, s0
	global_wb scope:SCOPE_SE
	s_wait_storecnt_dscnt 0x0
	s_barrier_signal -1
	s_barrier_wait -1
	global_inv scope:SCOPE_SE
	ds_load_b128 v[120:123], v255
	ds_load_b128 v[164:167], v255 offset:2496
	ds_load_b128 v[104:107], v255 offset:10816
	;; [unrolled: 1-line block ×11, first 2 shown]
	v_add_co_u32 v6, s0, s8, v255
	s_wait_alu 0xf1ff
	v_add_co_ci_u32_e64 v7, null, s9, 0, s0
	v_cmp_gt_u16_e64 s0, 52, v200
	scratch_store_b64 off, v[6:7], off offset:368 ; 8-byte Folded Spill
	s_and_saveexec_b32 s1, s0
	s_cbranch_execz .LBB0_7
; %bb.6:
	ds_load_b128 v[116:119], v255 offset:9984
	ds_load_b128 v[168:171], v255 offset:20800
	;; [unrolled: 1-line block ×3, first 2 shown]
.LBB0_7:
	s_wait_alu 0xfffe
	s_or_b32 exec_lo, exec_lo, s1
	v_lshrrev_b32_e32 v8, 20, v5
	v_lshrrev_b32_e32 v36, 20, v4
	v_lshrrev_b32_e32 v64, 20, v3
	s_mov_b32 s12, 0xe8584caa
	s_mov_b32 s13, 0x3febb67a
	v_mul_lo_u16 v5, v8, 52
	s_mov_b32 s15, 0xbfebb67a
	s_wait_alu 0xfffe
	s_mov_b32 s14, s12
	s_delay_alu instid0(VALU_DEP_1) | instskip(NEXT) | instid1(VALU_DEP_1)
	v_sub_nc_u16 v35, v0, v5
	v_lshlrev_b16 v0, 5, v35
	v_mad_u16 v8, 0x9c, v8, v35
	s_delay_alu instid0(VALU_DEP_2) | instskip(NEXT) | instid1(VALU_DEP_2)
	v_and_b32_e32 v0, 0xffff, v0
	v_and_b32_e32 v8, 0xffff, v8
	s_delay_alu instid0(VALU_DEP_2)
	v_add_co_u32 v5, s1, s10, v0
	s_wait_alu 0xf1ff
	v_add_co_ci_u32_e64 v6, null, s11, 0, s1
	v_mul_lo_u16 v0, v36, 52
	v_lshlrev_b32_e32 v8, 4, v8
	s_clause 0x1
	global_load_b128 v[108:111], v[5:6], off offset:624
	global_load_b128 v[112:115], v[5:6], off offset:640
	v_sub_nc_u16 v37, v1, v0
	s_delay_alu instid0(VALU_DEP_1) | instskip(NEXT) | instid1(VALU_DEP_1)
	v_lshlrev_b16 v0, 5, v37
	v_and_b32_e32 v0, 0xffff, v0
	s_delay_alu instid0(VALU_DEP_1) | instskip(SKIP_4) | instid1(VALU_DEP_1)
	v_add_co_u32 v0, s1, s10, v0
	s_wait_alu 0xf1ff
	v_add_co_ci_u32_e64 v1, null, s11, 0, s1
	s_wait_loadcnt_dscnt 0x108
	v_mul_f64_e32 v[5:6], v[130:131], v[110:111]
	v_fma_f64 v[13:14], v[128:129], v[108:109], -v[5:6]
	v_mul_f64_e32 v[5:6], v[128:129], v[110:111]
	s_delay_alu instid0(VALU_DEP_2) | instskip(NEXT) | instid1(VALU_DEP_2)
	v_add_f64_e32 v[31:32], v[164:165], v[13:14]
	v_fma_f64 v[9:10], v[130:131], v[108:109], v[5:6]
	s_wait_loadcnt_dscnt 0x6
	v_mul_f64_e32 v[5:6], v[126:127], v[114:115]
	s_delay_alu instid0(VALU_DEP_2) | instskip(NEXT) | instid1(VALU_DEP_2)
	v_add_f64_e32 v[29:30], v[166:167], v[9:10]
	v_fma_f64 v[15:16], v[124:125], v[112:113], -v[5:6]
	v_mul_f64_e32 v[5:6], v[124:125], v[114:115]
	s_delay_alu instid0(VALU_DEP_1)
	v_fma_f64 v[11:12], v[126:127], v[112:113], v[5:6]
	s_clause 0x1
	global_load_b128 v[124:127], v[0:1], off offset:624
	global_load_b128 v[128:131], v[0:1], off offset:640
	v_add_f64_e64 v[44:45], v[9:10], -v[11:12]
	s_wait_loadcnt_dscnt 0x103
	v_mul_f64_e32 v[0:1], v[146:147], v[126:127]
	s_delay_alu instid0(VALU_DEP_1) | instskip(SKIP_1) | instid1(VALU_DEP_2)
	v_fma_f64 v[25:26], v[144:145], v[124:125], -v[0:1]
	v_mul_f64_e32 v[0:1], v[144:145], v[126:127]
	v_add_f64_e32 v[46:47], v[156:157], v[25:26]
	s_delay_alu instid0(VALU_DEP_2) | instskip(SKIP_2) | instid1(VALU_DEP_1)
	v_fma_f64 v[21:22], v[146:147], v[124:125], v[0:1]
	s_wait_loadcnt_dscnt 0x1
	v_mul_f64_e32 v[0:1], v[142:143], v[130:131]
	v_fma_f64 v[27:28], v[140:141], v[128:129], -v[0:1]
	v_mul_f64_e32 v[0:1], v[140:141], v[130:131]
	s_delay_alu instid0(VALU_DEP_1) | instskip(SKIP_1) | instid1(VALU_DEP_1)
	v_fma_f64 v[23:24], v[142:143], v[128:129], v[0:1]
	v_mul_lo_u16 v0, v64, 52
	v_sub_nc_u16 v65, v2, v0
	s_delay_alu instid0(VALU_DEP_1) | instskip(NEXT) | instid1(VALU_DEP_1)
	v_lshlrev_b16 v0, 5, v65
	v_and_b32_e32 v0, 0xffff, v0
	s_delay_alu instid0(VALU_DEP_1)
	v_add_co_u32 v0, s1, s10, v0
	s_wait_alu 0xf1ff
	v_add_co_ci_u32_e64 v1, null, s11, 0, s1
	s_clause 0x1
	global_load_b128 v[140:143], v[0:1], off offset:624
	global_load_b128 v[144:147], v[0:1], off offset:640
	v_add_f64_e64 v[48:49], v[21:22], -v[23:24]
	s_wait_loadcnt 0x1
	v_mul_f64_e32 v[0:1], v[154:155], v[142:143]
	s_delay_alu instid0(VALU_DEP_1) | instskip(SKIP_1) | instid1(VALU_DEP_2)
	v_fma_f64 v[33:34], v[152:153], v[140:141], -v[0:1]
	v_mul_f64_e32 v[0:1], v[152:153], v[142:143]
	v_add_f64_e32 v[58:59], v[132:133], v[33:34]
	s_delay_alu instid0(VALU_DEP_2) | instskip(SKIP_2) | instid1(VALU_DEP_1)
	v_fma_f64 v[38:39], v[154:155], v[140:141], v[0:1]
	s_wait_loadcnt_dscnt 0x0
	v_mul_f64_e32 v[0:1], v[150:151], v[146:147]
	v_fma_f64 v[42:43], v[148:149], v[144:145], -v[0:1]
	v_mul_f64_e32 v[0:1], v[148:149], v[146:147]
	s_delay_alu instid0(VALU_DEP_1) | instskip(SKIP_1) | instid1(VALU_DEP_1)
	v_fma_f64 v[40:41], v[150:151], v[144:145], v[0:1]
	v_and_b32_e32 v0, 0xff, v200
	v_mul_lo_u16 v0, 0x4f, v0
	s_delay_alu instid0(VALU_DEP_1) | instskip(NEXT) | instid1(VALU_DEP_1)
	v_lshrrev_b16 v66, 12, v0
	v_mul_lo_u16 v0, v66, 52
	s_delay_alu instid0(VALU_DEP_1) | instskip(NEXT) | instid1(VALU_DEP_1)
	v_sub_nc_u16 v0, v200, v0
	v_and_b32_e32 v67, 0xff, v0
	s_delay_alu instid0(VALU_DEP_1)
	v_lshlrev_b32_e32 v0, 5, v67
	s_clause 0x1
	global_load_b128 v[148:151], v0, s[10:11] offset:624
	global_load_b128 v[152:155], v0, s[10:11] offset:640
	v_add_f64_e64 v[60:61], v[38:39], -v[40:41]
	s_wait_loadcnt 0x1
	v_mul_f64_e32 v[0:1], v[106:107], v[150:151]
	s_delay_alu instid0(VALU_DEP_1) | instskip(SKIP_1) | instid1(VALU_DEP_2)
	v_fma_f64 v[50:51], v[104:105], v[148:149], -v[0:1]
	v_mul_f64_e32 v[0:1], v[104:105], v[150:151]
	v_add_f64_e32 v[62:63], v[120:121], v[50:51]
	s_delay_alu instid0(VALU_DEP_2) | instskip(SKIP_2) | instid1(VALU_DEP_1)
	v_fma_f64 v[52:53], v[106:107], v[148:149], v[0:1]
	s_wait_loadcnt 0x0
	v_mul_f64_e32 v[0:1], v[102:103], v[154:155]
	v_fma_f64 v[54:55], v[100:101], v[152:153], -v[0:1]
	v_mul_f64_e32 v[0:1], v[100:101], v[154:155]
	s_delay_alu instid0(VALU_DEP_2) | instskip(NEXT) | instid1(VALU_DEP_2)
	v_add_f64_e32 v[100:101], v[62:63], v[54:55]
	v_fma_f64 v[56:57], v[102:103], v[152:153], v[0:1]
	v_add_nc_u32_e32 v0, 0x270, v200
	s_delay_alu instid0(VALU_DEP_1) | instskip(NEXT) | instid1(VALU_DEP_1)
	v_and_b32_e32 v1, 0xffff, v0
	v_mul_u32_u24_e32 v1, 0x4ec5, v1
	s_delay_alu instid0(VALU_DEP_1) | instskip(NEXT) | instid1(VALU_DEP_1)
	v_lshrrev_b32_e32 v1, 20, v1
	v_mul_lo_u16 v1, v1, 52
	s_delay_alu instid0(VALU_DEP_1) | instskip(NEXT) | instid1(VALU_DEP_1)
	v_sub_nc_u16 v68, v0, v1
	v_lshlrev_b16 v0, 5, v68
	s_delay_alu instid0(VALU_DEP_1) | instskip(NEXT) | instid1(VALU_DEP_1)
	v_and_b32_e32 v0, 0xffff, v0
	v_add_co_u32 v0, s1, s10, v0
	s_wait_alu 0xf1ff
	v_add_co_ci_u32_e64 v1, null, s11, 0, s1
	s_clause 0x1
	global_load_b128 v[4:7], v[0:1], off offset:624
	global_load_b128 v[17:20], v[0:1], off offset:640
	s_wait_loadcnt 0x1
	v_mul_f64_e32 v[0:1], v[170:171], v[6:7]
	v_mul_f64_e32 v[2:3], v[168:169], v[6:7]
	scratch_store_b128 off, v[4:7], off offset:460 ; 16-byte Folded Spill
	s_wait_loadcnt 0x0
	scratch_store_b128 off, v[17:20], off offset:476 ; 16-byte Folded Spill
	global_wb scope:SCOPE_SE
	s_wait_storecnt 0x0
	s_barrier_signal -1
	s_barrier_wait -1
	global_inv scope:SCOPE_SE
	v_fma_f64 v[0:1], v[168:169], v[4:5], -v[0:1]
	v_fma_f64 v[6:7], v[170:171], v[4:5], v[2:3]
	v_mul_f64_e32 v[2:3], v[162:163], v[19:20]
	v_mul_f64_e32 v[4:5], v[160:161], v[19:20]
	v_add_f64_e32 v[19:20], v[9:10], v[11:12]
	v_add_f64_e32 v[11:12], v[29:30], v[11:12]
	v_add_f64_e32 v[9:10], v[31:32], v[15:16]
	v_add_f64_e64 v[29:30], v[13:14], -v[15:16]
	v_add_f64_e32 v[31:32], v[21:22], v[23:24]
	v_fma_f64 v[2:3], v[160:161], v[17:18], -v[2:3]
	v_fma_f64 v[4:5], v[162:163], v[17:18], v[4:5]
	v_add_f64_e32 v[17:18], v[13:14], v[15:16]
	v_fma_f64 v[19:20], v[19:20], -0.5, v[166:167]
	v_fma_f64 v[31:32], v[31:32], -0.5, v[158:159]
	s_delay_alu instid0(VALU_DEP_3) | instskip(SKIP_1) | instid1(VALU_DEP_3)
	v_fma_f64 v[17:18], v[17:18], -0.5, v[164:165]
	s_wait_alu 0xfffe
	v_fma_f64 v[15:16], v[29:30], s[14:15], v[19:20]
	v_fma_f64 v[19:20], v[29:30], s[12:13], v[19:20]
	v_add_f64_e32 v[29:30], v[25:26], v[27:28]
	s_delay_alu instid0(VALU_DEP_4) | instskip(SKIP_2) | instid1(VALU_DEP_4)
	v_fma_f64 v[13:14], v[44:45], s[12:13], v[17:18]
	v_fma_f64 v[17:18], v[44:45], s[14:15], v[17:18]
	v_add_f64_e32 v[44:45], v[158:159], v[21:22]
	v_fma_f64 v[29:30], v[29:30], -0.5, v[156:157]
	v_add_f64_e32 v[21:22], v[46:47], v[27:28]
	v_add_f64_e32 v[46:47], v[38:39], v[40:41]
	s_delay_alu instid0(VALU_DEP_4)
	v_add_f64_e32 v[23:24], v[44:45], v[23:24]
	v_add_f64_e64 v[44:45], v[25:26], -v[27:28]
	v_fma_f64 v[25:26], v[48:49], s[12:13], v[29:30]
	v_fma_f64 v[29:30], v[48:49], s[14:15], v[29:30]
	v_fma_f64 v[48:49], v[46:47], -0.5, v[134:135]
	v_add_f64_e32 v[46:47], v[134:135], v[38:39]
	v_add_f64_e32 v[38:39], v[58:59], v[42:43]
	;; [unrolled: 1-line block ×3, first 2 shown]
	v_fma_f64 v[27:28], v[44:45], s[14:15], v[31:32]
	v_fma_f64 v[31:32], v[44:45], s[12:13], v[31:32]
	v_add_f64_e32 v[44:45], v[33:34], v[42:43]
	v_add_f64_e64 v[33:34], v[33:34], -v[42:43]
	v_add_f64_e32 v[40:41], v[46:47], v[40:41]
	v_fma_f64 v[58:59], v[58:59], -0.5, v[122:123]
	s_delay_alu instid0(VALU_DEP_4) | instskip(NEXT) | instid1(VALU_DEP_1)
	v_fma_f64 v[44:45], v[44:45], -0.5, v[132:133]
	v_fma_f64 v[42:43], v[60:61], s[12:13], v[44:45]
	v_fma_f64 v[46:47], v[60:61], s[14:15], v[44:45]
	v_fma_f64 v[44:45], v[33:34], s[14:15], v[48:49]
	v_fma_f64 v[48:49], v[33:34], s[12:13], v[48:49]
	v_add_f64_e32 v[33:34], v[50:51], v[54:55]
	v_add_f64_e32 v[60:61], v[122:123], v[52:53]
	v_add_f64_e64 v[52:53], v[52:53], -v[56:57]
	v_add_f64_e64 v[50:51], v[50:51], -v[54:55]
	s_delay_alu instid0(VALU_DEP_4) | instskip(NEXT) | instid1(VALU_DEP_4)
	v_fma_f64 v[33:34], v[33:34], -0.5, v[120:121]
	v_add_f64_e32 v[102:103], v[60:61], v[56:57]
	s_delay_alu instid0(VALU_DEP_3)
	v_fma_f64 v[106:107], v[50:51], s[14:15], v[58:59]
	v_fma_f64 v[122:123], v[50:51], s[12:13], v[58:59]
	v_add_f64_e32 v[50:51], v[6:7], v[4:5]
	v_fma_f64 v[104:105], v[52:53], s[12:13], v[33:34]
	v_fma_f64 v[120:121], v[52:53], s[14:15], v[33:34]
	v_add_f64_e32 v[33:34], v[0:1], v[2:3]
	v_add_f64_e64 v[52:53], v[6:7], -v[4:5]
	v_fma_f64 v[50:51], v[50:51], -0.5, v[118:119]
	s_delay_alu instid0(VALU_DEP_3) | instskip(NEXT) | instid1(VALU_DEP_1)
	v_fma_f64 v[33:34], v[33:34], -0.5, v[116:117]
	v_fma_f64 v[192:193], v[52:53], s[12:13], v[33:34]
	v_fma_f64 v[196:197], v[52:53], s[14:15], v[33:34]
	v_add_f64_e64 v[33:34], v[0:1], -v[2:3]
	s_delay_alu instid0(VALU_DEP_1) | instskip(SKIP_2) | instid1(VALU_DEP_1)
	v_fma_f64 v[194:195], v[33:34], s[14:15], v[50:51]
	v_fma_f64 v[198:199], v[33:34], s[12:13], v[50:51]
	v_and_b32_e32 v33, 0xffff, v66
	v_mul_u32_u24_e32 v33, 0x9c, v33
	s_delay_alu instid0(VALU_DEP_1)
	v_add_lshl_u32 v33, v33, v67, 4
	ds_store_b128 v33, v[100:103]
	ds_store_b128 v33, v[104:107] offset:832
	scratch_store_b32 off, v33, off offset:364 ; 4-byte Folded Spill
	ds_store_b128 v33, v[120:123] offset:1664
	ds_store_b128 v8, v[9:12]
	ds_store_b128 v8, v[13:16] offset:832
	scratch_store_b32 off, v8, off offset:360 ; 4-byte Folded Spill
	ds_store_b128 v8, v[17:20] offset:1664
	v_mad_u16 v8, 0x9c, v36, v37
	s_delay_alu instid0(VALU_DEP_1) | instskip(NEXT) | instid1(VALU_DEP_1)
	v_and_b32_e32 v8, 0xffff, v8
	v_lshlrev_b32_e32 v8, 4, v8
	ds_store_b128 v8, v[21:24]
	ds_store_b128 v8, v[25:28] offset:832
	scratch_store_b32 off, v8, off offset:352 ; 4-byte Folded Spill
	ds_store_b128 v8, v[29:32] offset:1664
	v_mad_u16 v8, 0x9c, v64, v65
	s_delay_alu instid0(VALU_DEP_1) | instskip(NEXT) | instid1(VALU_DEP_1)
	v_and_b32_e32 v8, 0xffff, v8
	v_lshlrev_b32_e32 v8, 4, v8
	ds_store_b128 v8, v[38:41]
	ds_store_b128 v8, v[42:45] offset:832
	scratch_store_b32 off, v8, off offset:356 ; 4-byte Folded Spill
	ds_store_b128 v8, v[46:49] offset:1664
	v_and_b32_e32 v8, 0xffff, v68
	scratch_store_b32 off, v8, off offset:348 ; 4-byte Folded Spill
	s_and_saveexec_b32 s1, s0
	s_cbranch_execz .LBB0_9
; %bb.8:
	v_add_f64_e32 v[0:1], v[116:117], v[0:1]
	v_add_f64_e32 v[6:7], v[118:119], v[6:7]
	s_delay_alu instid0(VALU_DEP_2)
	v_add_f64_e32 v[2:3], v[0:1], v[2:3]
	scratch_load_b32 v0, off, off offset:348 ; 4-byte Folded Reload
	v_add_f64_e32 v[4:5], v[6:7], v[4:5]
	s_wait_loadcnt 0x0
	v_lshlrev_b32_e32 v0, 4, v0
	ds_store_b128 v0, v[2:5] offset:29952
	ds_store_b128 v0, v[192:195] offset:30784
	;; [unrolled: 1-line block ×3, first 2 shown]
.LBB0_9:
	s_wait_alu 0xfffe
	s_or_b32 exec_lo, exec_lo, s1
	v_mad_co_u64_u32 v[0:1], null, 0xc0, v200, s[10:11]
	scratch_store_b32 off, v200, off offset:56 ; 4-byte Folded Spill
	global_wb scope:SCOPE_SE
	s_wait_storecnt_dscnt 0x0
	s_barrier_signal -1
	s_barrier_wait -1
	global_inv scope:SCOPE_SE
	s_mov_b32 s34, 0x4267c47c
	s_clause 0x3
	global_load_b128 v[156:159], v[0:1], off offset:2288
	global_load_b128 v[120:123], v[0:1], off offset:2304
	;; [unrolled: 1-line block ×4, first 2 shown]
	ds_load_b128 v[160:163], v255 offset:2496
	ds_load_b128 v[2:5], v255
	ds_load_b128 v[6:9], v255 offset:4992
	ds_load_b128 v[10:13], v255 offset:7488
	s_mov_b32 s20, 0x42a4c3d2
	s_mov_b32 s22, 0x66966769
	;; [unrolled: 1-line block ×22, first 2 shown]
	s_wait_alu 0xfffe
	s_mov_b32 s40, s12
	s_mov_b32 s36, s22
	;; [unrolled: 1-line block ×10, first 2 shown]
	s_add_nc_u64 s[8:9], s[8:9], 0x7ec0
	s_wait_loadcnt_dscnt 0x303
	v_mul_f64_e32 v[14:15], v[162:163], v[158:159]
	s_wait_loadcnt_dscnt 0x201
	v_mul_f64_e32 v[18:19], v[8:9], v[122:123]
	v_mul_f64_e32 v[20:21], v[6:7], v[122:123]
	;; [unrolled: 1-line block ×3, first 2 shown]
	s_delay_alu instid0(VALU_DEP_4) | instskip(NEXT) | instid1(VALU_DEP_4)
	v_fma_f64 v[14:15], v[160:161], v[156:157], -v[14:15]
	v_fma_f64 v[210:211], v[6:7], v[120:121], -v[18:19]
	s_delay_alu instid0(VALU_DEP_4) | instskip(SKIP_4) | instid1(VALU_DEP_3)
	v_fma_f64 v[212:213], v[8:9], v[120:121], v[20:21]
	s_wait_loadcnt_dscnt 0x100
	v_mul_f64_e32 v[6:7], v[12:13], v[118:119]
	v_mul_f64_e32 v[8:9], v[10:11], v[118:119]
	v_fma_f64 v[16:17], v[162:163], v[156:157], v[16:17]
	v_fma_f64 v[214:215], v[10:11], v[116:117], -v[6:7]
	s_delay_alu instid0(VALU_DEP_3)
	v_fma_f64 v[216:217], v[12:13], v[116:117], v[8:9]
	ds_load_b128 v[6:9], v255 offset:9984
	ds_load_b128 v[10:13], v255 offset:12480
	s_clause 0x1
	global_load_b128 v[164:167], v[0:1], off offset:2352
	global_load_b128 v[160:163], v[0:1], off offset:2368
	s_wait_loadcnt_dscnt 0x201
	v_mul_f64_e32 v[18:19], v[8:9], v[134:135]
	s_delay_alu instid0(VALU_DEP_1) | instskip(SKIP_1) | instid1(VALU_DEP_1)
	v_fma_f64 v[218:219], v[6:7], v[132:133], -v[18:19]
	v_mul_f64_e32 v[6:7], v[6:7], v[134:135]
	v_fma_f64 v[220:221], v[8:9], v[132:133], v[6:7]
	s_wait_loadcnt_dscnt 0x100
	v_mul_f64_e32 v[6:7], v[12:13], v[166:167]
	s_delay_alu instid0(VALU_DEP_1) | instskip(SKIP_1) | instid1(VALU_DEP_1)
	v_fma_f64 v[222:223], v[10:11], v[164:165], -v[6:7]
	v_mul_f64_e32 v[6:7], v[10:11], v[166:167]
	v_fma_f64 v[224:225], v[12:13], v[164:165], v[6:7]
	ds_load_b128 v[6:9], v255 offset:14976
	ds_load_b128 v[10:13], v255 offset:17472
	s_clause 0x1
	global_load_b128 v[172:175], v[0:1], off offset:2384
	global_load_b128 v[168:171], v[0:1], off offset:2400
	s_wait_loadcnt_dscnt 0x201
	v_mul_f64_e32 v[18:19], v[8:9], v[162:163]
	s_delay_alu instid0(VALU_DEP_1) | instskip(SKIP_1) | instid1(VALU_DEP_1)
	v_fma_f64 v[226:227], v[6:7], v[160:161], -v[18:19]
	v_mul_f64_e32 v[6:7], v[6:7], v[162:163]
	v_fma_f64 v[228:229], v[8:9], v[160:161], v[6:7]
	s_wait_loadcnt_dscnt 0x100
	v_mul_f64_e32 v[6:7], v[12:13], v[174:175]
	s_delay_alu instid0(VALU_DEP_1) | instskip(SKIP_1) | instid1(VALU_DEP_2)
	v_fma_f64 v[230:231], v[10:11], v[172:173], -v[6:7]
	v_mul_f64_e32 v[6:7], v[10:11], v[174:175]
	v_add_f64_e32 v[36:37], v[226:227], v[230:231]
	s_delay_alu instid0(VALU_DEP_2)
	v_fma_f64 v[232:233], v[12:13], v[172:173], v[6:7]
	ds_load_b128 v[6:9], v255 offset:19968
	ds_load_b128 v[10:13], v255 offset:22464
	s_clause 0x1
	global_load_b128 v[176:179], v[0:1], off offset:2416
	global_load_b128 v[180:183], v[0:1], off offset:2432
	v_add_f64_e64 v[68:69], v[226:227], -v[230:231]
	s_wait_loadcnt_dscnt 0x201
	v_mul_f64_e32 v[18:19], v[8:9], v[170:171]
	v_add_f64_e64 v[102:103], v[228:229], -v[232:233]
	v_add_f64_e32 v[70:71], v[228:229], v[232:233]
	s_delay_alu instid0(VALU_DEP_3) | instskip(SKIP_1) | instid1(VALU_DEP_1)
	v_fma_f64 v[234:235], v[6:7], v[168:169], -v[18:19]
	v_mul_f64_e32 v[6:7], v[6:7], v[170:171]
	v_fma_f64 v[236:237], v[8:9], v[168:169], v[6:7]
	s_delay_alu instid0(VALU_DEP_1) | instskip(SKIP_2) | instid1(VALU_DEP_1)
	v_add_f64_e32 v[104:105], v[224:225], v[236:237]
	s_wait_loadcnt_dscnt 0x100
	v_mul_f64_e32 v[6:7], v[12:13], v[178:179]
	v_fma_f64 v[238:239], v[10:11], v[176:177], -v[6:7]
	v_mul_f64_e32 v[6:7], v[10:11], v[178:179]
	s_delay_alu instid0(VALU_DEP_2) | instskip(NEXT) | instid1(VALU_DEP_2)
	v_add_f64_e64 v[100:101], v[218:219], -v[238:239]
	v_fma_f64 v[240:241], v[12:13], v[176:177], v[6:7]
	ds_load_b128 v[6:9], v255 offset:24960
	ds_load_b128 v[10:13], v255 offset:27456
	s_clause 0x1
	global_load_b128 v[184:187], v[0:1], off offset:2448
	global_load_b128 v[188:191], v[0:1], off offset:2464
	s_wait_loadcnt_dscnt 0x201
	v_mul_f64_e32 v[18:19], v[8:9], v[182:183]
	v_mul_f64_e32 v[208:209], s[16:17], v[100:101]
	s_delay_alu instid0(VALU_DEP_2) | instskip(SKIP_1) | instid1(VALU_DEP_1)
	v_fma_f64 v[242:243], v[6:7], v[180:181], -v[18:19]
	v_mul_f64_e32 v[6:7], v[6:7], v[182:183]
	v_fma_f64 v[244:245], v[8:9], v[180:181], v[6:7]
	ds_load_b128 v[6:9], v255 offset:29952
	s_wait_loadcnt_dscnt 0x101
	v_mul_f64_e32 v[0:1], v[12:13], v[186:187]
	s_delay_alu instid0(VALU_DEP_1) | instskip(SKIP_1) | instid1(VALU_DEP_1)
	v_fma_f64 v[246:247], v[10:11], v[184:185], -v[0:1]
	v_mul_f64_e32 v[0:1], v[10:11], v[186:187]
	v_fma_f64 v[248:249], v[12:13], v[184:185], v[0:1]
	s_wait_loadcnt_dscnt 0x0
	v_mul_f64_e32 v[0:1], v[6:7], v[190:191]
	s_delay_alu instid0(VALU_DEP_1) | instskip(SKIP_1) | instid1(VALU_DEP_2)
	v_fma_f64 v[250:251], v[8:9], v[188:189], v[0:1]
	v_mul_f64_e32 v[0:1], v[8:9], v[190:191]
	v_add_f64_e32 v[46:47], v[16:17], v[250:251]
	s_delay_alu instid0(VALU_DEP_2) | instskip(SKIP_1) | instid1(VALU_DEP_2)
	v_fma_f64 v[253:254], v[6:7], v[188:189], -v[0:1]
	v_add_f64_e64 v[0:1], v[16:17], -v[250:251]
	v_add_f64_e32 v[20:21], v[14:15], v[253:254]
	s_delay_alu instid0(VALU_DEP_2)
	v_mul_f64_e32 v[6:7], s[34:35], v[0:1]
	v_mul_f64_e32 v[8:9], s[20:21], v[0:1]
	;; [unrolled: 1-line block ×6, first 2 shown]
	v_fma_f64 v[22:23], v[20:21], s[30:31], -v[6:7]
	v_fma_f64 v[6:7], v[20:21], s[30:31], v[6:7]
	v_fma_f64 v[24:25], v[20:21], s[26:27], -v[8:9]
	v_fma_f64 v[8:9], v[20:21], s[26:27], v[8:9]
	;; [unrolled: 2-line block ×6, first 2 shown]
	v_add_f64_e64 v[20:21], v[14:15], -v[253:254]
	v_add_f64_e32 v[14:15], v[2:3], v[14:15]
	v_add_f64_e32 v[206:207], v[2:3], v[6:7]
	;; [unrolled: 1-line block ×5, first 2 shown]
	v_add_f64_e64 v[32:33], v[216:217], -v[244:245]
	v_add_f64_e32 v[0:1], v[2:3], v[0:1]
	v_mul_f64_e32 v[42:43], s[16:17], v[20:21]
	v_mul_f64_e32 v[44:45], s[12:13], v[20:21]
	;; [unrolled: 1-line block ×6, first 2 shown]
	scratch_store_b64 off, v[14:15], off offset:376 ; 8-byte Folded Spill
	v_add_f64_e32 v[14:15], v[4:5], v[16:17]
	v_add_f64_e32 v[16:17], v[2:3], v[22:23]
	s_clause 0x1
	scratch_store_b64 off, v[6:7], off offset:448
	scratch_store_b64 off, v[0:1], off offset:392
	v_fma_f64 v[56:57], v[46:47], s[24:25], v[42:43]
	v_fma_f64 v[60:61], v[46:47], s[18:19], -v[44:45]
	v_fma_f64 v[48:49], v[46:47], s[30:31], v[26:27]
	v_fma_f64 v[26:27], v[46:47], s[30:31], -v[26:27]
	v_fma_f64 v[50:51], v[46:47], s[26:27], v[38:39]
	v_fma_f64 v[62:63], v[46:47], s[14:15], v[20:21]
	v_fma_f64 v[64:65], v[46:47], s[14:15], -v[20:21]
	v_fma_f64 v[38:39], v[46:47], s[26:27], -v[38:39]
	v_fma_f64 v[52:53], v[46:47], s[28:29], v[40:41]
	v_fma_f64 v[54:55], v[46:47], s[28:29], -v[40:41]
	v_fma_f64 v[42:43], v[46:47], s[24:25], -v[42:43]
	v_fma_f64 v[58:59], v[46:47], s[18:19], v[44:45]
	v_add_f64_e32 v[20:21], v[2:3], v[24:25]
	v_add_f64_e32 v[46:47], v[2:3], v[28:29]
	v_add_f64_e32 v[40:41], v[2:3], v[10:11]
	v_add_f64_e64 v[10:11], v[210:211], -v[246:247]
	v_mul_f64_e32 v[24:25], s[22:23], v[32:33]
	v_add_f64_e32 v[6:7], v[4:5], v[56:57]
	v_add_f64_e32 v[48:49], v[4:5], v[48:49]
	;; [unrolled: 1-line block ×5, first 2 shown]
	scratch_store_b64 off, v[14:15], off offset:384 ; 8-byte Folded Spill
	v_add_f64_e32 v[14:15], v[2:3], v[8:9]
	v_add_f64_e64 v[8:9], v[212:213], -v[248:249]
	v_add_f64_e32 v[26:27], v[4:5], v[38:39]
	v_add_f64_e32 v[44:45], v[4:5], v[52:53]
	v_add_f64_e32 v[66:67], v[4:5], v[54:55]
	v_add_f64_e32 v[76:77], v[4:5], v[42:43]
	v_add_f64_e32 v[72:73], v[4:5], v[58:59]
	v_mul_f64_e32 v[12:13], s[20:21], v[10:11]
	v_add_f64_e32 v[38:39], v[218:219], v[238:239]
	scratch_store_b64 off, v[6:7], off offset:440 ; 8-byte Folded Spill
	v_add_f64_e32 v[6:7], v[2:3], v[18:19]
	scratch_store_b64 off, v[0:1], off offset:400 ; 8-byte Folded Spill
	;; [unrolled: 2-line block ×4, first 2 shown]
	v_add_f64_e32 v[6:7], v[2:3], v[34:35]
	v_add_f64_e64 v[34:35], v[214:215], -v[242:243]
	scratch_store_b64 off, v[6:7], off offset:416 ; 8-byte Folded Spill
	v_add_f64_e32 v[6:7], v[4:5], v[62:63]
	scratch_store_b64 off, v[6:7], off offset:408 ; 8-byte Folded Spill
	v_mul_f64_e32 v[6:7], s[20:21], v[8:9]
	s_delay_alu instid0(VALU_DEP_1) | instskip(SKIP_1) | instid1(VALU_DEP_2)
	v_fma_f64 v[2:3], v[0:1], s[26:27], -v[6:7]
	v_fma_f64 v[6:7], v[0:1], s[26:27], v[6:7]
	v_add_f64_e32 v[4:5], v[2:3], v[16:17]
	v_add_f64_e32 v[2:3], v[212:213], v[248:249]
	s_delay_alu instid0(VALU_DEP_3) | instskip(NEXT) | instid1(VALU_DEP_2)
	v_add_f64_e32 v[6:7], v[6:7], v[206:207]
	v_fma_f64 v[16:17], v[2:3], s[26:27], v[12:13]
	v_fma_f64 v[12:13], v[2:3], s[26:27], -v[12:13]
	s_delay_alu instid0(VALU_DEP_2) | instskip(SKIP_2) | instid1(VALU_DEP_4)
	v_add_f64_e32 v[28:29], v[16:17], v[48:49]
	v_add_f64_e32 v[16:17], v[214:215], v[242:243]
	v_mul_f64_e32 v[48:49], s[22:23], v[34:35]
	v_add_f64_e32 v[12:13], v[12:13], v[204:205]
	s_delay_alu instid0(VALU_DEP_3) | instskip(SKIP_1) | instid1(VALU_DEP_2)
	v_fma_f64 v[18:19], v[16:17], s[28:29], -v[24:25]
	v_fma_f64 v[24:25], v[16:17], s[28:29], v[24:25]
	v_add_f64_e32 v[30:31], v[18:19], v[4:5]
	v_add_f64_e32 v[18:19], v[216:217], v[244:245]
	s_delay_alu instid0(VALU_DEP_3) | instskip(NEXT) | instid1(VALU_DEP_2)
	v_add_f64_e32 v[6:7], v[24:25], v[6:7]
	v_fma_f64 v[4:5], v[18:19], s[28:29], v[48:49]
	v_fma_f64 v[24:25], v[18:19], s[28:29], -v[48:49]
	s_delay_alu instid0(VALU_DEP_2) | instskip(SKIP_1) | instid1(VALU_DEP_3)
	v_add_f64_e32 v[28:29], v[4:5], v[28:29]
	v_add_f64_e64 v[4:5], v[220:221], -v[240:241]
	v_add_f64_e32 v[12:13], v[24:25], v[12:13]
	s_delay_alu instid0(VALU_DEP_2) | instskip(NEXT) | instid1(VALU_DEP_1)
	v_mul_f64_e32 v[106:107], s[16:17], v[4:5]
	v_fma_f64 v[42:43], v[38:39], s[24:25], -v[106:107]
	v_fma_f64 v[24:25], v[38:39], s[24:25], v[106:107]
	v_mul_f64_e32 v[106:107], s[44:45], v[102:103]
	s_delay_alu instid0(VALU_DEP_3) | instskip(SKIP_1) | instid1(VALU_DEP_4)
	v_add_f64_e32 v[30:31], v[42:43], v[30:31]
	v_add_f64_e32 v[42:43], v[220:221], v[240:241]
	;; [unrolled: 1-line block ×3, first 2 shown]
	s_delay_alu instid0(VALU_DEP_2) | instskip(SKIP_1) | instid1(VALU_DEP_2)
	v_fma_f64 v[50:51], v[42:43], s[24:25], v[208:209]
	v_fma_f64 v[24:25], v[42:43], s[24:25], -v[208:209]
	v_add_f64_e32 v[52:53], v[50:51], v[28:29]
	v_add_f64_e64 v[28:29], v[224:225], -v[236:237]
	v_add_f64_e32 v[50:51], v[222:223], v[234:235]
	s_delay_alu instid0(VALU_DEP_4) | instskip(NEXT) | instid1(VALU_DEP_3)
	v_add_f64_e32 v[12:13], v[24:25], v[12:13]
	v_mul_f64_e32 v[54:55], s[12:13], v[28:29]
	s_delay_alu instid0(VALU_DEP_1) | instskip(SKIP_3) | instid1(VALU_DEP_3)
	v_fma_f64 v[56:57], v[50:51], s[18:19], -v[54:55]
	v_fma_f64 v[24:25], v[50:51], s[18:19], v[54:55]
	s_wait_alu 0xfffe
	v_mul_f64_e32 v[54:55], s[40:41], v[4:5]
	v_add_f64_e32 v[56:57], v[56:57], v[30:31]
	v_add_f64_e64 v[30:31], v[222:223], -v[234:235]
	s_delay_alu instid0(VALU_DEP_4) | instskip(NEXT) | instid1(VALU_DEP_2)
	v_add_f64_e32 v[6:7], v[24:25], v[6:7]
	v_mul_f64_e32 v[58:59], s[12:13], v[30:31]
	s_delay_alu instid0(VALU_DEP_1) | instskip(SKIP_2) | instid1(VALU_DEP_3)
	v_fma_f64 v[60:61], v[104:105], s[18:19], v[58:59]
	v_fma_f64 v[24:25], v[104:105], s[18:19], -v[58:59]
	v_mul_f64_e32 v[58:59], s[36:37], v[28:29]
	v_add_f64_e32 v[52:53], v[60:61], v[52:53]
	v_mul_f64_e32 v[60:61], s[10:11], v[102:103]
	s_delay_alu instid0(VALU_DEP_4) | instskip(NEXT) | instid1(VALU_DEP_2)
	v_add_f64_e32 v[12:13], v[24:25], v[12:13]
	v_fma_f64 v[62:63], v[36:37], s[14:15], -v[60:61]
	v_fma_f64 v[24:25], v[36:37], s[14:15], v[60:61]
	v_mul_f64_e32 v[60:61], s[36:37], v[30:31]
	s_delay_alu instid0(VALU_DEP_3) | instskip(SKIP_1) | instid1(VALU_DEP_4)
	v_add_f64_e32 v[200:201], v[62:63], v[56:57]
	v_mul_f64_e32 v[56:57], s[10:11], v[68:69]
	v_add_f64_e32 v[204:205], v[24:25], v[6:7]
	v_mul_f64_e32 v[6:7], s[16:17], v[8:9]
	v_mul_f64_e32 v[24:25], s[16:17], v[10:11]
	s_delay_alu instid0(VALU_DEP_4) | instskip(SKIP_2) | instid1(VALU_DEP_3)
	v_fma_f64 v[48:49], v[70:71], s[14:15], -v[56:57]
	v_fma_f64 v[62:63], v[70:71], s[14:15], v[56:57]
	v_mul_f64_e32 v[56:57], s[40:41], v[100:101]
	v_add_f64_e32 v[206:207], v[48:49], v[12:13]
	v_fma_f64 v[12:13], v[0:1], s[24:25], -v[6:7]
	v_mul_f64_e32 v[48:49], s[10:11], v[32:33]
	v_add_f64_e32 v[202:203], v[62:63], v[52:53]
	v_mul_f64_e32 v[52:53], s[10:11], v[34:35]
	v_fma_f64 v[6:7], v[0:1], s[24:25], v[6:7]
	v_mul_f64_e32 v[62:63], s[38:39], v[102:103]
	v_add_f64_e32 v[12:13], v[12:13], v[20:21]
	v_fma_f64 v[20:21], v[2:3], s[24:25], v[24:25]
	s_delay_alu instid0(VALU_DEP_4) | instskip(SKIP_2) | instid1(VALU_DEP_4)
	v_add_f64_e32 v[6:7], v[6:7], v[14:15]
	v_fma_f64 v[14:15], v[2:3], s[24:25], -v[24:25]
	v_fma_f64 v[24:25], v[16:17], s[14:15], v[48:49]
	v_add_f64_e32 v[20:21], v[20:21], v[22:23]
	v_fma_f64 v[22:23], v[16:17], s[14:15], -v[48:49]
	s_delay_alu instid0(VALU_DEP_4) | instskip(NEXT) | instid1(VALU_DEP_4)
	v_add_f64_e32 v[14:15], v[14:15], v[26:27]
	v_add_f64_e32 v[6:7], v[24:25], v[6:7]
	v_fma_f64 v[24:25], v[18:19], s[14:15], -v[52:53]
	s_delay_alu instid0(VALU_DEP_4) | instskip(SKIP_1) | instid1(VALU_DEP_3)
	v_add_f64_e32 v[12:13], v[22:23], v[12:13]
	v_fma_f64 v[22:23], v[18:19], s[14:15], v[52:53]
	v_add_f64_e32 v[14:15], v[24:25], v[14:15]
	v_fma_f64 v[24:25], v[38:39], s[18:19], v[54:55]
	s_delay_alu instid0(VALU_DEP_3) | instskip(SKIP_1) | instid1(VALU_DEP_3)
	v_add_f64_e32 v[20:21], v[22:23], v[20:21]
	v_fma_f64 v[22:23], v[38:39], s[18:19], -v[54:55]
	v_add_f64_e32 v[6:7], v[24:25], v[6:7]
	v_fma_f64 v[24:25], v[42:43], s[18:19], -v[56:57]
	s_delay_alu instid0(VALU_DEP_3) | instskip(SKIP_1) | instid1(VALU_DEP_3)
	v_add_f64_e32 v[12:13], v[22:23], v[12:13]
	v_fma_f64 v[22:23], v[42:43], s[18:19], v[56:57]
	v_add_f64_e32 v[14:15], v[24:25], v[14:15]
	v_fma_f64 v[24:25], v[50:51], s[28:29], v[58:59]
	s_delay_alu instid0(VALU_DEP_3) | instskip(SKIP_1) | instid1(VALU_DEP_3)
	v_add_f64_e32 v[20:21], v[22:23], v[20:21]
	v_fma_f64 v[22:23], v[50:51], s[28:29], -v[58:59]
	v_add_f64_e32 v[6:7], v[24:25], v[6:7]
	v_fma_f64 v[24:25], v[104:105], s[28:29], -v[60:61]
	s_delay_alu instid0(VALU_DEP_3) | instskip(SKIP_1) | instid1(VALU_DEP_3)
	v_add_f64_e32 v[12:13], v[22:23], v[12:13]
	v_fma_f64 v[22:23], v[104:105], s[28:29], v[60:61]
	v_add_f64_e32 v[14:15], v[24:25], v[14:15]
	v_fma_f64 v[24:25], v[36:37], s[30:31], v[62:63]
	s_delay_alu instid0(VALU_DEP_3) | instskip(SKIP_1) | instid1(VALU_DEP_1)
	v_add_f64_e32 v[22:23], v[22:23], v[20:21]
	v_fma_f64 v[20:21], v[36:37], s[30:31], -v[62:63]
	v_add_f64_e32 v[20:21], v[20:21], v[12:13]
	v_mul_f64_e32 v[12:13], s[38:39], v[68:69]
	s_delay_alu instid0(VALU_DEP_1) | instskip(SKIP_3) | instid1(VALU_DEP_4)
	v_fma_f64 v[64:65], v[70:71], s[30:31], v[12:13]
	v_fma_f64 v[26:27], v[70:71], s[30:31], -v[12:13]
	v_add_f64_e32 v[12:13], v[24:25], v[6:7]
	v_mul_f64_e32 v[6:7], s[10:11], v[8:9]
	v_add_f64_e32 v[22:23], v[64:65], v[22:23]
	s_delay_alu instid0(VALU_DEP_4) | instskip(NEXT) | instid1(VALU_DEP_3)
	v_add_f64_e32 v[14:15], v[26:27], v[14:15]
	v_fma_f64 v[24:25], v[0:1], s[14:15], -v[6:7]
	v_fma_f64 v[6:7], v[0:1], s[14:15], v[6:7]
	s_delay_alu instid0(VALU_DEP_2) | instskip(SKIP_1) | instid1(VALU_DEP_3)
	v_add_f64_e32 v[24:25], v[24:25], v[46:47]
	v_mul_f64_e32 v[46:47], s[10:11], v[10:11]
	v_add_f64_e32 v[6:7], v[6:7], v[40:41]
	s_delay_alu instid0(VALU_DEP_2) | instskip(SKIP_1) | instid1(VALU_DEP_2)
	v_fma_f64 v[26:27], v[2:3], s[14:15], v[46:47]
	v_fma_f64 v[40:41], v[2:3], s[14:15], -v[46:47]
	v_add_f64_e32 v[26:27], v[26:27], v[44:45]
	v_mul_f64_e32 v[44:45], s[42:43], v[32:33]
	s_delay_alu instid0(VALU_DEP_3) | instskip(SKIP_1) | instid1(VALU_DEP_3)
	v_add_f64_e32 v[40:41], v[40:41], v[66:67]
	v_mul_f64_e32 v[66:67], s[46:47], v[30:31]
	v_fma_f64 v[48:49], v[16:17], s[24:25], -v[44:45]
	v_fma_f64 v[44:45], v[16:17], s[24:25], v[44:45]
	s_delay_alu instid0(VALU_DEP_2) | instskip(SKIP_1) | instid1(VALU_DEP_3)
	v_add_f64_e32 v[24:25], v[48:49], v[24:25]
	v_mul_f64_e32 v[48:49], s[42:43], v[34:35]
	v_add_f64_e32 v[6:7], v[44:45], v[6:7]
	s_delay_alu instid0(VALU_DEP_2)
	v_fma_f64 v[52:53], v[18:19], s[24:25], v[48:49]
	v_fma_f64 v[44:45], v[18:19], s[24:25], -v[48:49]
	scratch_load_b64 v[48:49], off, off offset:448 th:TH_LOAD_LU ; 8-byte Folded Reload
	v_add_f64_e32 v[26:27], v[52:53], v[26:27]
	v_mul_f64_e32 v[52:53], s[38:39], v[4:5]
	v_add_f64_e32 v[40:41], v[44:45], v[40:41]
	s_delay_alu instid0(VALU_DEP_2) | instskip(SKIP_1) | instid1(VALU_DEP_2)
	v_fma_f64 v[54:55], v[38:39], s[30:31], -v[52:53]
	v_fma_f64 v[44:45], v[38:39], s[30:31], v[52:53]
	v_add_f64_e32 v[24:25], v[54:55], v[24:25]
	v_mul_f64_e32 v[54:55], s[38:39], v[100:101]
	s_delay_alu instid0(VALU_DEP_3) | instskip(NEXT) | instid1(VALU_DEP_2)
	v_add_f64_e32 v[6:7], v[44:45], v[6:7]
	v_fma_f64 v[56:57], v[42:43], s[30:31], v[54:55]
	v_fma_f64 v[44:45], v[42:43], s[30:31], -v[54:55]
	scratch_load_b64 v[54:55], off, off offset:440 th:TH_LOAD_LU ; 8-byte Folded Reload
	v_add_f64_e32 v[26:27], v[56:57], v[26:27]
	v_mul_f64_e32 v[56:57], s[20:21], v[28:29]
	v_add_f64_e32 v[40:41], v[44:45], v[40:41]
	s_delay_alu instid0(VALU_DEP_2) | instskip(SKIP_2) | instid1(VALU_DEP_3)
	v_fma_f64 v[58:59], v[50:51], s[26:27], -v[56:57]
	v_fma_f64 v[44:45], v[50:51], s[26:27], v[56:57]
	v_mul_f64_e32 v[56:57], s[38:39], v[32:33]
	v_add_f64_e32 v[24:25], v[58:59], v[24:25]
	v_mul_f64_e32 v[58:59], s[20:21], v[30:31]
	s_delay_alu instid0(VALU_DEP_4) | instskip(NEXT) | instid1(VALU_DEP_2)
	v_add_f64_e32 v[6:7], v[44:45], v[6:7]
	v_fma_f64 v[60:61], v[104:105], s[26:27], v[58:59]
	v_fma_f64 v[44:45], v[104:105], s[26:27], -v[58:59]
	v_mul_f64_e32 v[58:59], s[38:39], v[34:35]
	s_delay_alu instid0(VALU_DEP_3) | instskip(SKIP_1) | instid1(VALU_DEP_4)
	v_add_f64_e32 v[26:27], v[60:61], v[26:27]
	v_mul_f64_e32 v[60:61], s[12:13], v[102:103]
	v_add_f64_e32 v[40:41], v[44:45], v[40:41]
	s_delay_alu instid0(VALU_DEP_2) | instskip(SKIP_2) | instid1(VALU_DEP_3)
	v_fma_f64 v[62:63], v[36:37], s[18:19], -v[60:61]
	v_fma_f64 v[44:45], v[36:37], s[18:19], v[60:61]
	v_mul_f64_e32 v[60:61], s[22:23], v[4:5]
	v_add_f64_e32 v[24:25], v[62:63], v[24:25]
	v_mul_f64_e32 v[62:63], s[12:13], v[68:69]
	s_delay_alu instid0(VALU_DEP_4) | instskip(SKIP_1) | instid1(VALU_DEP_3)
	v_add_f64_e32 v[44:45], v[44:45], v[6:7]
	v_mul_f64_e32 v[6:7], s[40:41], v[8:9]
	v_fma_f64 v[46:47], v[70:71], s[18:19], -v[62:63]
	v_fma_f64 v[64:65], v[70:71], s[18:19], v[62:63]
	v_mul_f64_e32 v[62:63], s[22:23], v[100:101]
	s_delay_alu instid0(VALU_DEP_3)
	v_add_f64_e32 v[46:47], v[46:47], v[40:41]
	v_fma_f64 v[40:41], v[0:1], s[18:19], -v[6:7]
	v_fma_f64 v[6:7], v[0:1], s[18:19], v[6:7]
	v_add_f64_e32 v[26:27], v[64:65], v[26:27]
	v_mul_f64_e32 v[64:65], s[46:47], v[28:29]
	s_wait_loadcnt 0x1
	s_delay_alu instid0(VALU_DEP_4) | instskip(SKIP_2) | instid1(VALU_DEP_2)
	v_add_f64_e32 v[40:41], v[40:41], v[48:49]
	v_mul_f64_e32 v[48:49], s[40:41], v[10:11]
	v_add_f64_e32 v[6:7], v[6:7], v[78:79]
	v_fma_f64 v[52:53], v[2:3], s[18:19], v[48:49]
	v_fma_f64 v[48:49], v[2:3], s[18:19], -v[48:49]
	s_wait_loadcnt 0x0
	s_delay_alu instid0(VALU_DEP_2) | instskip(SKIP_2) | instid1(VALU_DEP_4)
	v_add_f64_e32 v[52:53], v[52:53], v[54:55]
	v_fma_f64 v[54:55], v[16:17], s[30:31], -v[56:57]
	v_fma_f64 v[56:57], v[16:17], s[30:31], v[56:57]
	v_add_f64_e32 v[48:49], v[48:49], v[76:77]
	v_mul_f64_e32 v[76:77], s[16:17], v[102:103]
	s_delay_alu instid0(VALU_DEP_4) | instskip(SKIP_3) | instid1(VALU_DEP_3)
	v_add_f64_e32 v[40:41], v[54:55], v[40:41]
	v_fma_f64 v[54:55], v[18:19], s[30:31], v[58:59]
	v_add_f64_e32 v[6:7], v[56:57], v[6:7]
	v_fma_f64 v[56:57], v[18:19], s[30:31], -v[58:59]
	v_add_f64_e32 v[52:53], v[54:55], v[52:53]
	v_fma_f64 v[54:55], v[38:39], s[28:29], -v[60:61]
	s_delay_alu instid0(VALU_DEP_3) | instskip(SKIP_1) | instid1(VALU_DEP_3)
	v_add_f64_e32 v[48:49], v[56:57], v[48:49]
	v_fma_f64 v[56:57], v[38:39], s[28:29], v[60:61]
	v_add_f64_e32 v[40:41], v[54:55], v[40:41]
	v_fma_f64 v[54:55], v[42:43], s[28:29], v[62:63]
	s_delay_alu instid0(VALU_DEP_3) | instskip(SKIP_1) | instid1(VALU_DEP_3)
	v_add_f64_e32 v[6:7], v[56:57], v[6:7]
	v_fma_f64 v[56:57], v[42:43], s[28:29], -v[62:63]
	v_add_f64_e32 v[52:53], v[54:55], v[52:53]
	v_fma_f64 v[54:55], v[50:51], s[14:15], -v[64:65]
	s_delay_alu instid0(VALU_DEP_3)
	v_add_f64_e32 v[48:49], v[56:57], v[48:49]
	v_fma_f64 v[56:57], v[50:51], s[14:15], v[64:65]
	v_mul_f64_e32 v[64:65], s[20:21], v[32:33]
	v_mul_f64_e32 v[32:33], s[12:13], v[32:33]
	v_add_f64_e32 v[40:41], v[54:55], v[40:41]
	v_fma_f64 v[54:55], v[104:105], s[14:15], v[66:67]
	v_add_f64_e32 v[6:7], v[56:57], v[6:7]
	v_fma_f64 v[56:57], v[104:105], s[14:15], -v[66:67]
	v_fma_f64 v[62:63], v[16:17], s[26:27], -v[64:65]
	v_mul_f64_e32 v[66:67], s[20:21], v[34:35]
	v_fma_f64 v[64:65], v[16:17], s[26:27], v[64:65]
	v_mul_f64_e32 v[34:35], s[12:13], v[34:35]
	v_add_f64_e32 v[54:55], v[54:55], v[52:53]
	v_fma_f64 v[52:53], v[36:37], s[26:27], -v[106:107]
	v_add_f64_e32 v[48:49], v[56:57], v[48:49]
	v_fma_f64 v[56:57], v[36:37], s[26:27], v[106:107]
	v_mul_f64_e32 v[106:107], s[46:47], v[4:5]
	s_delay_alu instid0(VALU_DEP_4) | instskip(SKIP_1) | instid1(VALU_DEP_4)
	v_add_f64_e32 v[52:53], v[52:53], v[40:41]
	v_mul_f64_e32 v[40:41], s[44:45], v[68:69]
	v_add_f64_e32 v[56:57], v[56:57], v[6:7]
	v_mul_f64_e32 v[6:7], s[36:37], v[8:9]
	v_mul_f64_e32 v[8:9], s[38:39], v[8:9]
	s_delay_alu instid0(VALU_DEP_4) | instskip(SKIP_1) | instid1(VALU_DEP_2)
	v_fma_f64 v[208:209], v[70:71], s[26:27], v[40:41]
	v_fma_f64 v[40:41], v[70:71], s[26:27], -v[40:41]
	v_add_f64_e32 v[54:55], v[208:209], v[54:55]
	s_delay_alu instid0(VALU_DEP_2)
	v_add_f64_e32 v[58:59], v[40:41], v[48:49]
	v_fma_f64 v[40:41], v[0:1], s[28:29], -v[6:7]
	v_mul_f64_e32 v[48:49], s[36:37], v[10:11]
	v_mul_f64_e32 v[208:209], s[46:47], v[100:101]
	v_fma_f64 v[6:7], v[0:1], s[28:29], v[6:7]
	v_mul_f64_e32 v[10:11], s[38:39], v[10:11]
	v_add_f64_e32 v[40:41], v[40:41], v[74:75]
	v_fma_f64 v[60:61], v[2:3], s[28:29], v[48:49]
	v_mul_f64_e32 v[74:75], s[38:39], v[30:31]
	v_fma_f64 v[48:49], v[2:3], s[28:29], -v[48:49]
	v_mul_f64_e32 v[30:31], s[16:17], v[30:31]
	v_add_f64_e32 v[40:41], v[62:63], v[40:41]
	v_add_f64_e32 v[60:61], v[60:61], v[72:73]
	v_fma_f64 v[62:63], v[18:19], s[26:27], v[66:67]
	v_mul_f64_e32 v[72:73], s[38:39], v[28:29]
	v_mul_f64_e32 v[28:29], s[16:17], v[28:29]
	s_delay_alu instid0(VALU_DEP_3) | instskip(SKIP_1) | instid1(VALU_DEP_1)
	v_add_f64_e32 v[60:61], v[62:63], v[60:61]
	v_fma_f64 v[62:63], v[38:39], s[14:15], -v[106:107]
	v_add_f64_e32 v[40:41], v[62:63], v[40:41]
	v_fma_f64 v[62:63], v[42:43], s[14:15], v[208:209]
	s_delay_alu instid0(VALU_DEP_1) | instskip(SKIP_1) | instid1(VALU_DEP_1)
	v_add_f64_e32 v[60:61], v[62:63], v[60:61]
	v_fma_f64 v[62:63], v[50:51], s[30:31], -v[72:73]
	v_add_f64_e32 v[40:41], v[62:63], v[40:41]
	v_fma_f64 v[62:63], v[104:105], s[30:31], v[74:75]
	s_delay_alu instid0(VALU_DEP_1) | instskip(SKIP_1) | instid1(VALU_DEP_1)
	v_add_f64_e32 v[62:63], v[62:63], v[60:61]
	v_fma_f64 v[60:61], v[36:37], s[24:25], -v[76:77]
	v_add_f64_e32 v[60:61], v[60:61], v[40:41]
	v_mul_f64_e32 v[40:41], s[16:17], v[68:69]
	v_mul_f64_e32 v[68:69], s[36:37], v[68:69]
	s_delay_alu instid0(VALU_DEP_2) | instskip(SKIP_1) | instid1(VALU_DEP_2)
	v_fma_f64 v[78:79], v[70:71], s[24:25], v[40:41]
	v_fma_f64 v[40:41], v[70:71], s[24:25], -v[40:41]
	v_add_f64_e32 v[62:63], v[78:79], v[62:63]
	scratch_load_b64 v[78:79], off, off offset:432 th:TH_LOAD_LU ; 8-byte Folded Reload
	s_wait_loadcnt 0x0
	v_add_f64_e32 v[6:7], v[6:7], v[78:79]
	scratch_load_b64 v[78:79], off, off offset:424 th:TH_LOAD_LU ; 8-byte Folded Reload
	v_add_f64_e32 v[6:7], v[64:65], v[6:7]
	v_fma_f64 v[64:65], v[18:19], s[26:27], -v[66:67]
	s_wait_loadcnt 0x0
	v_add_f64_e32 v[48:49], v[48:49], v[78:79]
	s_delay_alu instid0(VALU_DEP_1) | instskip(SKIP_1) | instid1(VALU_DEP_1)
	v_add_f64_e32 v[48:49], v[64:65], v[48:49]
	v_fma_f64 v[64:65], v[38:39], s[14:15], v[106:107]
	v_add_f64_e32 v[6:7], v[64:65], v[6:7]
	v_fma_f64 v[64:65], v[42:43], s[14:15], -v[208:209]
	s_delay_alu instid0(VALU_DEP_1) | instskip(SKIP_2) | instid1(VALU_DEP_2)
	v_add_f64_e32 v[48:49], v[64:65], v[48:49]
	v_fma_f64 v[64:65], v[50:51], s[30:31], v[72:73]
	v_mul_f64_e32 v[72:73], s[44:45], v[100:101]
	v_add_f64_e32 v[6:7], v[64:65], v[6:7]
	v_fma_f64 v[64:65], v[104:105], s[30:31], -v[74:75]
	s_delay_alu instid0(VALU_DEP_1) | instskip(SKIP_1) | instid1(VALU_DEP_2)
	v_add_f64_e32 v[48:49], v[64:65], v[48:49]
	v_fma_f64 v[64:65], v[36:37], s[24:25], v[76:77]
	v_add_f64_e32 v[66:67], v[40:41], v[48:49]
	s_clause 0x1
	scratch_load_b64 v[40:41], off, off offset:416 th:TH_LOAD_LU
	scratch_load_b64 v[48:49], off, off offset:408 th:TH_LOAD_LU
	v_add_f64_e32 v[64:65], v[64:65], v[6:7]
	v_fma_f64 v[6:7], v[0:1], s[30:31], -v[8:9]
	v_fma_f64 v[0:1], v[0:1], s[30:31], v[8:9]
	v_fma_f64 v[8:9], v[16:17], s[18:19], v[32:33]
	s_wait_loadcnt 0x1
	s_delay_alu instid0(VALU_DEP_3) | instskip(SKIP_4) | instid1(VALU_DEP_3)
	v_add_f64_e32 v[6:7], v[6:7], v[40:41]
	v_fma_f64 v[40:41], v[2:3], s[30:31], v[10:11]
	v_fma_f64 v[2:3], v[2:3], s[30:31], -v[10:11]
	v_fma_f64 v[10:11], v[18:19], s[18:19], -v[34:35]
	s_wait_loadcnt 0x0
	v_add_f64_e32 v[40:41], v[40:41], v[48:49]
	v_fma_f64 v[48:49], v[16:17], s[18:19], -v[32:33]
	scratch_load_b64 v[16:17], off, off offset:392 th:TH_LOAD_LU ; 8-byte Folded Reload
	v_add_f64_e32 v[6:7], v[48:49], v[6:7]
	v_fma_f64 v[48:49], v[18:19], s[18:19], v[34:35]
	v_fma_f64 v[18:19], v[42:43], s[26:27], -v[72:73]
	s_delay_alu instid0(VALU_DEP_2) | instskip(SKIP_1) | instid1(VALU_DEP_1)
	v_add_f64_e32 v[40:41], v[48:49], v[40:41]
	v_mul_f64_e32 v[48:49], s[44:45], v[4:5]
	v_fma_f64 v[4:5], v[38:39], s[26:27], -v[48:49]
	s_delay_alu instid0(VALU_DEP_1) | instskip(SKIP_1) | instid1(VALU_DEP_1)
	v_add_f64_e32 v[4:5], v[4:5], v[6:7]
	v_fma_f64 v[6:7], v[42:43], s[26:27], v[72:73]
	v_add_f64_e32 v[6:7], v[6:7], v[40:41]
	v_fma_f64 v[40:41], v[50:51], s[24:25], -v[28:29]
	s_delay_alu instid0(VALU_DEP_1) | instskip(SKIP_1) | instid1(VALU_DEP_1)
	v_add_f64_e32 v[4:5], v[40:41], v[4:5]
	v_fma_f64 v[40:41], v[104:105], s[24:25], v[30:31]
	v_add_f64_e32 v[6:7], v[40:41], v[6:7]
	v_mul_f64_e32 v[40:41], s[36:37], v[102:103]
	s_delay_alu instid0(VALU_DEP_1)
	v_fma_f64 v[74:75], v[36:37], s[28:29], -v[40:41]
	s_wait_loadcnt 0x0
	v_add_f64_e32 v[0:1], v[0:1], v[16:17]
	scratch_load_b64 v[16:17], off, off offset:400 th:TH_LOAD_LU ; 8-byte Folded Reload
	v_add_f64_e32 v[4:5], v[74:75], v[4:5]
	v_fma_f64 v[74:75], v[70:71], s[28:29], v[68:69]
	v_add_f64_e32 v[0:1], v[8:9], v[0:1]
	v_fma_f64 v[8:9], v[50:51], s[24:25], v[28:29]
	s_delay_alu instid0(VALU_DEP_3) | instskip(SKIP_3) | instid1(VALU_DEP_2)
	v_add_f64_e32 v[6:7], v[74:75], v[6:7]
	s_wait_loadcnt 0x0
	v_add_f64_e32 v[2:3], v[2:3], v[16:17]
	v_fma_f64 v[16:17], v[38:39], s[26:27], v[48:49]
	v_add_f64_e32 v[2:3], v[10:11], v[2:3]
	v_fma_f64 v[10:11], v[104:105], s[24:25], -v[30:31]
	s_delay_alu instid0(VALU_DEP_3) | instskip(SKIP_1) | instid1(VALU_DEP_4)
	v_add_f64_e32 v[0:1], v[16:17], v[0:1]
	v_fma_f64 v[16:17], v[36:37], s[28:29], v[40:41]
	v_add_f64_e32 v[2:3], v[18:19], v[2:3]
	v_fma_f64 v[18:19], v[70:71], s[28:29], -v[68:69]
	s_delay_alu instid0(VALU_DEP_4)
	v_add_f64_e32 v[0:1], v[8:9], v[0:1]
	scratch_load_b64 v[8:9], off, off offset:376 th:TH_LOAD_LU ; 8-byte Folded Reload
	v_add_f64_e32 v[2:3], v[10:11], v[2:3]
	scratch_load_b64 v[10:11], off, off offset:384 th:TH_LOAD_LU ; 8-byte Folded Reload
	v_add_f64_e32 v[0:1], v[16:17], v[0:1]
	v_add_f64_e32 v[2:3], v[18:19], v[2:3]
	s_wait_loadcnt 0x1
	v_add_f64_e32 v[8:9], v[8:9], v[210:211]
	s_wait_loadcnt 0x0
	v_add_f64_e32 v[10:11], v[10:11], v[212:213]
	s_delay_alu instid0(VALU_DEP_2) | instskip(NEXT) | instid1(VALU_DEP_2)
	v_add_f64_e32 v[8:9], v[8:9], v[214:215]
	v_add_f64_e32 v[10:11], v[10:11], v[216:217]
	s_delay_alu instid0(VALU_DEP_2) | instskip(NEXT) | instid1(VALU_DEP_2)
	v_add_f64_e32 v[8:9], v[8:9], v[218:219]
	;; [unrolled: 3-line block ×10, first 2 shown]
	v_add_f64_e32 v[10:11], v[10:11], v[250:251]
	ds_store_b128 v255, v[20:23] offset:4992
	ds_store_b128 v255, v[24:27] offset:7488
	;; [unrolled: 1-line block ×12, first 2 shown]
	ds_store_b128 v255, v[8:11]
	global_wb scope:SCOPE_SE
	s_wait_storecnt_dscnt 0x0
	s_barrier_signal -1
	s_barrier_wait -1
	global_inv scope:SCOPE_SE
	scratch_load_b64 v[0:1], off, off offset:368 th:TH_LOAD_LU ; 8-byte Folded Reload
	s_wait_loadcnt 0x0
	global_load_b128 v[0:3], v[0:1], off offset:32448
	ds_load_b128 v[4:7], v255
	ds_load_b128 v[8:11], v255 offset:2496
	s_wait_loadcnt_dscnt 0x1
	v_mul_f64_e32 v[12:13], v[6:7], v[2:3]
	v_mul_f64_e32 v[2:3], v[4:5], v[2:3]
	s_delay_alu instid0(VALU_DEP_2) | instskip(NEXT) | instid1(VALU_DEP_2)
	v_fma_f64 v[200:201], v[4:5], v[0:1], -v[12:13]
	v_fma_f64 v[202:203], v[6:7], v[0:1], v[2:3]
	global_load_b128 v[0:3], v255, s[8:9] offset:2496
	ds_load_b128 v[4:7], v255 offset:29952
	s_wait_loadcnt_dscnt 0x1
	v_mul_f64_e32 v[12:13], v[10:11], v[2:3]
	v_mul_f64_e32 v[2:3], v[8:9], v[2:3]
	s_delay_alu instid0(VALU_DEP_2) | instskip(NEXT) | instid1(VALU_DEP_2)
	v_fma_f64 v[8:9], v[8:9], v[0:1], -v[12:13]
	v_fma_f64 v[10:11], v[10:11], v[0:1], v[2:3]
	s_clause 0x1
	global_load_b128 v[0:3], v255, s[8:9] offset:4992
	global_load_b128 v[12:15], v255, s[8:9] offset:7488
	ds_load_b128 v[16:19], v255 offset:4992
	ds_load_b128 v[20:23], v255 offset:7488
	s_wait_loadcnt_dscnt 0x101
	v_mul_f64_e32 v[24:25], v[18:19], v[2:3]
	v_mul_f64_e32 v[2:3], v[16:17], v[2:3]
	s_delay_alu instid0(VALU_DEP_2) | instskip(NEXT) | instid1(VALU_DEP_2)
	v_fma_f64 v[16:17], v[16:17], v[0:1], -v[24:25]
	v_fma_f64 v[18:19], v[18:19], v[0:1], v[2:3]
	s_wait_loadcnt_dscnt 0x0
	v_mul_f64_e32 v[0:1], v[22:23], v[14:15]
	v_mul_f64_e32 v[2:3], v[20:21], v[14:15]
	s_delay_alu instid0(VALU_DEP_2) | instskip(NEXT) | instid1(VALU_DEP_2)
	v_fma_f64 v[0:1], v[20:21], v[12:13], -v[0:1]
	v_fma_f64 v[2:3], v[22:23], v[12:13], v[2:3]
	s_clause 0x1
	global_load_b128 v[12:15], v255, s[8:9] offset:9984
	global_load_b128 v[20:23], v255, s[8:9] offset:12480
	ds_load_b128 v[24:27], v255 offset:9984
	ds_load_b128 v[28:31], v255 offset:12480
	s_wait_loadcnt_dscnt 0x101
	v_mul_f64_e32 v[32:33], v[26:27], v[14:15]
	v_mul_f64_e32 v[14:15], v[24:25], v[14:15]
	s_delay_alu instid0(VALU_DEP_2) | instskip(NEXT) | instid1(VALU_DEP_2)
	v_fma_f64 v[24:25], v[24:25], v[12:13], -v[32:33]
	v_fma_f64 v[26:27], v[26:27], v[12:13], v[14:15]
	;; [unrolled: 17-line block ×5, first 2 shown]
	s_wait_loadcnt_dscnt 0x0
	v_mul_f64_e32 v[36:37], v[54:55], v[46:47]
	v_mul_f64_e32 v[38:39], v[52:53], v[46:47]
	s_delay_alu instid0(VALU_DEP_2) | instskip(NEXT) | instid1(VALU_DEP_2)
	v_fma_f64 v[36:37], v[52:53], v[44:45], -v[36:37]
	v_fma_f64 v[38:39], v[54:55], v[44:45], v[38:39]
	global_load_b128 v[44:47], v255, s[8:9] offset:29952
	s_wait_loadcnt 0x0
	v_mul_f64_e32 v[52:53], v[6:7], v[46:47]
	v_mul_f64_e32 v[46:47], v[4:5], v[46:47]
	s_delay_alu instid0(VALU_DEP_2) | instskip(NEXT) | instid1(VALU_DEP_2)
	v_fma_f64 v[4:5], v[4:5], v[44:45], -v[52:53]
	v_fma_f64 v[6:7], v[6:7], v[44:45], v[46:47]
	ds_store_b128 v255, v[200:203]
	ds_store_b128 v255, v[8:11] offset:2496
	ds_store_b128 v255, v[16:19] offset:4992
	;; [unrolled: 1-line block ×12, first 2 shown]
	global_wb scope:SCOPE_SE
	s_wait_dscnt 0x0
	s_barrier_signal -1
	s_barrier_wait -1
	global_inv scope:SCOPE_SE
	ds_load_b128 v[200:203], v255
	ds_load_b128 v[204:207], v255 offset:2496
	ds_load_b128 v[208:211], v255 offset:4992
	;; [unrolled: 1-line block ×9, first 2 shown]
	s_wait_dscnt 0x8
	v_add_f64_e32 v[0:1], v[200:201], v[204:205]
	v_add_f64_e32 v[2:3], v[202:203], v[206:207]
	s_wait_dscnt 0x1
	v_add_f64_e32 v[24:25], v[222:223], v[10:11]
	v_add_f64_e64 v[26:27], v[222:223], -v[10:11]
	s_wait_dscnt 0x0
	v_add_f64_e32 v[48:49], v[218:219], v[14:15]
	v_add_f64_e64 v[102:103], v[218:219], -v[14:15]
	v_add_f64_e32 v[44:45], v[226:227], v[230:231]
	v_add_f64_e64 v[46:47], v[226:227], -v[230:231]
	v_add_f64_e32 v[0:1], v[0:1], v[208:209]
	v_add_f64_e32 v[2:3], v[2:3], v[210:211]
	s_delay_alu instid0(VALU_DEP_2) | instskip(NEXT) | instid1(VALU_DEP_2)
	v_add_f64_e32 v[0:1], v[0:1], v[212:213]
	v_add_f64_e32 v[2:3], v[2:3], v[214:215]
	s_delay_alu instid0(VALU_DEP_2) | instskip(NEXT) | instid1(VALU_DEP_2)
	;; [unrolled: 3-line block ×4, first 2 shown]
	v_add_f64_e32 v[4:5], v[0:1], v[224:225]
	v_add_f64_e32 v[6:7], v[2:3], v[226:227]
	v_add_f64_e32 v[0:1], v[224:225], v[228:229]
	v_add_f64_e64 v[2:3], v[224:225], -v[228:229]
	s_delay_alu instid0(VALU_DEP_4) | instskip(NEXT) | instid1(VALU_DEP_4)
	v_add_f64_e32 v[16:17], v[4:5], v[228:229]
	v_add_f64_e32 v[18:19], v[6:7], v[230:231]
	v_add_f64_e32 v[4:5], v[220:221], v[8:9]
	v_add_f64_e64 v[6:7], v[220:221], -v[8:9]
	s_delay_alu instid0(VALU_DEP_4) | instskip(NEXT) | instid1(VALU_DEP_4)
	;; [unrolled: 5-line block ×3, first 2 shown]
	v_add_f64_e32 v[28:29], v[16:17], v[12:13]
	v_add_f64_e32 v[30:31], v[18:19], v[14:15]
	ds_load_b128 v[16:19], v255 offset:24960
	ds_load_b128 v[20:23], v255 offset:27456
	s_wait_dscnt 0x1
	v_add_f64_e32 v[12:13], v[212:213], v[16:17]
	v_add_f64_e32 v[216:217], v[214:215], v[18:19]
	v_add_f64_e64 v[14:15], v[212:213], -v[16:17]
	v_add_f64_e64 v[212:213], v[214:215], -v[18:19]
	s_wait_dscnt 0x0
	v_add_f64_e32 v[214:215], v[210:211], v[22:23]
	v_add_f64_e64 v[218:219], v[210:211], -v[22:23]
	v_add_f64_e32 v[28:29], v[28:29], v[16:17]
	v_add_f64_e32 v[30:31], v[30:31], v[18:19]
	;; [unrolled: 1-line block ×3, first 2 shown]
	v_add_f64_e64 v[18:19], v[208:209], -v[20:21]
	s_delay_alu instid0(VALU_DEP_4) | instskip(NEXT) | instid1(VALU_DEP_4)
	v_add_f64_e32 v[28:29], v[28:29], v[20:21]
	v_add_f64_e32 v[30:31], v[30:31], v[22:23]
	ds_load_b128 v[20:23], v255 offset:29952
	global_wb scope:SCOPE_SE
	s_wait_dscnt 0x0
	s_barrier_signal -1
	s_barrier_wait -1
	global_inv scope:SCOPE_SE
	v_add_f64_e64 v[32:33], v[206:207], -v[22:23]
	v_add_f64_e32 v[34:35], v[204:205], v[20:21]
	v_add_f64_e64 v[38:39], v[204:205], -v[20:21]
	v_add_f64_e32 v[36:37], v[206:207], v[22:23]
	v_add_f64_e32 v[204:205], v[28:29], v[20:21]
	;; [unrolled: 1-line block ×3, first 2 shown]
	v_mul_f64_e32 v[28:29], s[22:23], v[32:33]
	v_mul_f64_e32 v[20:21], s[34:35], v[32:33]
	v_mul_f64_e32 v[22:23], s[20:21], v[32:33]
	v_mul_f64_e32 v[30:31], s[16:17], v[32:33]
	v_mul_f64_e32 v[40:41], s[12:13], v[32:33]
	v_mul_f64_e32 v[32:33], s[10:11], v[32:33]
	v_mul_f64_e32 v[62:63], s[28:29], v[36:37]
	v_mul_f64_e32 v[64:65], s[24:25], v[36:37]
	v_mul_f64_e32 v[66:67], s[18:19], v[36:37]
	v_fma_f64 v[54:55], v[34:35], s[28:29], v[28:29]
	v_fma_f64 v[28:29], v[34:35], s[28:29], -v[28:29]
	v_fma_f64 v[42:43], v[34:35], s[30:31], v[20:21]
	v_fma_f64 v[20:21], v[34:35], s[30:31], -v[20:21]
	;; [unrolled: 2-line block ×6, first 2 shown]
	v_mul_f64_e32 v[22:23], s[30:31], v[36:37]
	v_mul_f64_e32 v[34:35], s[26:27], v[36:37]
	;; [unrolled: 1-line block ×3, first 2 shown]
	v_fma_f64 v[72:73], v[38:39], s[36:37], v[62:63]
	v_fma_f64 v[62:63], v[38:39], s[22:23], v[62:63]
	;; [unrolled: 1-line block ×6, first 2 shown]
	v_add_f64_e32 v[228:229], v[200:201], v[54:55]
	v_add_f64_e32 v[230:231], v[200:201], v[28:29]
	v_mul_f64_e32 v[28:29], s[20:21], v[218:219]
	v_add_f64_e32 v[20:21], v[200:201], v[20:21]
	v_add_f64_e32 v[224:225], v[200:201], v[52:53]
	v_add_f64_e32 v[234:235], v[200:201], v[56:57]
	v_add_f64_e32 v[236:237], v[200:201], v[30:31]
	v_add_f64_e32 v[240:241], v[200:201], v[58:59]
	v_add_f64_e32 v[222:223], v[200:201], v[40:41]
	v_add_f64_e32 v[106:107], v[200:201], v[60:61]
	v_add_f64_e32 v[100:101], v[200:201], v[32:33]
	v_fma_f64 v[68:69], v[38:39], s[38:39], v[22:23]
	v_fma_f64 v[22:23], v[38:39], s[34:35], v[22:23]
	;; [unrolled: 1-line block ×6, first 2 shown]
	v_add_f64_e32 v[38:39], v[200:201], v[42:43]
	v_mul_f64_e32 v[60:61], s[10:11], v[212:213]
	v_add_f64_e32 v[232:233], v[202:203], v[62:63]
	v_mul_f64_e32 v[58:59], s[24:25], v[214:215]
	v_add_f64_e32 v[238:239], v[202:203], v[64:65]
	v_add_f64_e32 v[220:221], v[202:203], v[66:67]
	;; [unrolled: 1-line block ×5, first 2 shown]
	v_fma_f64 v[30:31], v[16:17], s[26:27], v[28:29]
	v_add_f64_e32 v[42:43], v[202:203], v[68:69]
	v_add_f64_e32 v[68:69], v[200:201], v[50:51]
	v_mul_f64_e32 v[200:201], s[14:15], v[44:45]
	v_add_f64_e32 v[226:227], v[202:203], v[34:35]
	v_add_f64_e32 v[104:105], v[202:203], v[78:79]
	;; [unrolled: 1-line block ×3, first 2 shown]
	v_mul_f64_e32 v[78:79], s[10:11], v[46:47]
	v_fma_f64 v[62:63], v[12:13], s[14:15], v[60:61]
	v_add_f64_e32 v[70:71], v[202:203], v[70:71]
	v_fma_f64 v[60:61], v[12:13], s[14:15], -v[60:61]
	v_add_f64_e32 v[22:23], v[202:203], v[22:23]
	v_add_f64_e32 v[34:35], v[30:31], v[38:39]
	v_mul_f64_e32 v[30:31], s[26:27], v[214:215]
	s_delay_alu instid0(VALU_DEP_1) | instskip(NEXT) | instid1(VALU_DEP_1)
	v_fma_f64 v[32:33], v[18:19], s[44:45], v[30:31]
	v_add_f64_e32 v[36:37], v[32:33], v[42:43]
	v_mul_f64_e32 v[32:33], s[22:23], v[212:213]
	s_delay_alu instid0(VALU_DEP_1) | instskip(NEXT) | instid1(VALU_DEP_1)
	v_fma_f64 v[38:39], v[12:13], s[28:29], v[32:33]
	;; [unrolled: 4-line block ×7, first 2 shown]
	v_add_f64_e32 v[52:53], v[56:57], v[52:53]
	v_fma_f64 v[56:57], v[0:1], s[14:15], v[78:79]
	s_delay_alu instid0(VALU_DEP_1) | instskip(SKIP_2) | instid1(VALU_DEP_2)
	v_add_f64_e32 v[208:209], v[56:57], v[54:55]
	v_fma_f64 v[54:55], v[2:3], s[46:47], v[200:201]
	v_mul_f64_e32 v[56:57], s[16:17], v[218:219]
	v_add_f64_e32 v[210:211], v[54:55], v[52:53]
	s_delay_alu instid0(VALU_DEP_2) | instskip(SKIP_3) | instid1(VALU_DEP_4)
	v_fma_f64 v[52:53], v[16:17], s[24:25], v[56:57]
	v_fma_f64 v[54:55], v[18:19], s[42:43], v[58:59]
	v_fma_f64 v[56:57], v[16:17], s[24:25], -v[56:57]
	v_fma_f64 v[58:59], v[18:19], s[16:17], v[58:59]
	v_add_f64_e32 v[52:53], v[52:53], v[68:69]
	s_delay_alu instid0(VALU_DEP_4) | instskip(NEXT) | instid1(VALU_DEP_4)
	v_add_f64_e32 v[54:55], v[54:55], v[70:71]
	v_add_f64_e32 v[56:57], v[56:57], v[224:225]
	s_delay_alu instid0(VALU_DEP_4) | instskip(NEXT) | instid1(VALU_DEP_4)
	v_add_f64_e32 v[58:59], v[58:59], v[226:227]
	v_add_f64_e32 v[52:53], v[62:63], v[52:53]
	v_mul_f64_e32 v[62:63], s[14:15], v[216:217]
	s_delay_alu instid0(VALU_DEP_4) | instskip(NEXT) | instid1(VALU_DEP_2)
	v_add_f64_e32 v[56:57], v[60:61], v[56:57]
	v_fma_f64 v[64:65], v[14:15], s[46:47], v[62:63]
	v_fma_f64 v[60:61], v[14:15], s[10:11], v[62:63]
	s_delay_alu instid0(VALU_DEP_2) | instskip(SKIP_1) | instid1(VALU_DEP_3)
	v_add_f64_e32 v[54:55], v[64:65], v[54:55]
	v_mul_f64_e32 v[64:65], s[40:41], v[102:103]
	v_add_f64_e32 v[58:59], v[60:61], v[58:59]
	s_delay_alu instid0(VALU_DEP_2) | instskip(SKIP_2) | instid1(VALU_DEP_3)
	v_fma_f64 v[66:67], v[8:9], s[18:19], v[64:65]
	v_fma_f64 v[60:61], v[8:9], s[18:19], -v[64:65]
	v_mul_f64_e32 v[64:65], s[10:11], v[218:219]
	v_add_f64_e32 v[52:53], v[66:67], v[52:53]
	v_mul_f64_e32 v[66:67], s[18:19], v[48:49]
	s_delay_alu instid0(VALU_DEP_4) | instskip(NEXT) | instid1(VALU_DEP_2)
	v_add_f64_e32 v[56:57], v[60:61], v[56:57]
	v_fma_f64 v[68:69], v[10:11], s[12:13], v[66:67]
	v_fma_f64 v[60:61], v[10:11], s[40:41], v[66:67]
	v_mul_f64_e32 v[66:67], s[14:15], v[214:215]
	s_delay_alu instid0(VALU_DEP_3) | instskip(SKIP_1) | instid1(VALU_DEP_4)
	v_add_f64_e32 v[54:55], v[68:69], v[54:55]
	v_mul_f64_e32 v[68:69], s[36:37], v[26:27]
	v_add_f64_e32 v[58:59], v[60:61], v[58:59]
	s_delay_alu instid0(VALU_DEP_2) | instskip(SKIP_2) | instid1(VALU_DEP_3)
	v_fma_f64 v[70:71], v[4:5], s[28:29], v[68:69]
	v_fma_f64 v[60:61], v[4:5], s[28:29], -v[68:69]
	v_mul_f64_e32 v[68:69], s[42:43], v[212:213]
	v_add_f64_e32 v[52:53], v[70:71], v[52:53]
	v_mul_f64_e32 v[70:71], s[28:29], v[24:25]
	s_delay_alu instid0(VALU_DEP_4) | instskip(NEXT) | instid1(VALU_DEP_2)
	v_add_f64_e32 v[56:57], v[60:61], v[56:57]
	v_fma_f64 v[202:203], v[6:7], s[22:23], v[70:71]
	v_fma_f64 v[60:61], v[6:7], s[36:37], v[70:71]
	;; [unrolled: 1-line block ×3, first 2 shown]
	v_fma_f64 v[68:69], v[12:13], s[24:25], -v[68:69]
	s_delay_alu instid0(VALU_DEP_4) | instskip(SKIP_2) | instid1(VALU_DEP_2)
	v_add_f64_e32 v[54:55], v[202:203], v[54:55]
	v_mul_f64_e32 v[202:203], s[38:39], v[46:47]
	v_add_f64_e32 v[58:59], v[60:61], v[58:59]
	v_fma_f64 v[242:243], v[0:1], s[30:31], v[202:203]
	v_fma_f64 v[60:61], v[0:1], s[30:31], -v[202:203]
	s_delay_alu instid0(VALU_DEP_2) | instskip(SKIP_1) | instid1(VALU_DEP_3)
	v_add_f64_e32 v[52:53], v[242:243], v[52:53]
	v_mul_f64_e32 v[242:243], s[30:31], v[44:45]
	v_add_f64_e32 v[56:57], v[60:61], v[56:57]
	v_fma_f64 v[60:61], v[16:17], s[14:15], v[64:65]
	v_fma_f64 v[64:65], v[16:17], s[14:15], -v[64:65]
	s_delay_alu instid0(VALU_DEP_4) | instskip(SKIP_1) | instid1(VALU_DEP_4)
	v_fma_f64 v[62:63], v[2:3], s[38:39], v[242:243]
	v_fma_f64 v[244:245], v[2:3], s[34:35], v[242:243]
	v_add_f64_e32 v[60:61], v[60:61], v[228:229]
	s_delay_alu instid0(VALU_DEP_4)
	v_add_f64_e32 v[64:65], v[64:65], v[230:231]
	v_mul_f64_e32 v[230:231], s[22:23], v[102:103]
	v_add_f64_e32 v[58:59], v[62:63], v[58:59]
	v_fma_f64 v[62:63], v[18:19], s[46:47], v[66:67]
	v_add_f64_e32 v[60:61], v[70:71], v[60:61]
	v_mul_f64_e32 v[70:71], s[24:25], v[216:217]
	v_fma_f64 v[66:67], v[18:19], s[10:11], v[66:67]
	v_add_f64_e32 v[64:65], v[68:69], v[64:65]
	v_add_f64_e32 v[54:55], v[244:245], v[54:55]
	;; [unrolled: 1-line block ×3, first 2 shown]
	v_fma_f64 v[72:73], v[14:15], s[16:17], v[70:71]
	v_add_f64_e32 v[66:67], v[66:67], v[232:233]
	v_fma_f64 v[68:69], v[14:15], s[42:43], v[70:71]
	v_mul_f64_e32 v[232:233], s[28:29], v[48:49]
	s_delay_alu instid0(VALU_DEP_4) | instskip(SKIP_1) | instid1(VALU_DEP_4)
	v_add_f64_e32 v[62:63], v[72:73], v[62:63]
	v_mul_f64_e32 v[72:73], s[38:39], v[102:103]
	v_add_f64_e32 v[66:67], v[68:69], v[66:67]
	s_delay_alu instid0(VALU_DEP_2) | instskip(SKIP_2) | instid1(VALU_DEP_3)
	v_fma_f64 v[202:203], v[8:9], s[30:31], v[72:73]
	v_fma_f64 v[68:69], v[8:9], s[30:31], -v[72:73]
	v_mul_f64_e32 v[72:73], s[18:19], v[214:215]
	v_add_f64_e32 v[60:61], v[202:203], v[60:61]
	v_mul_f64_e32 v[202:203], s[30:31], v[48:49]
	s_delay_alu instid0(VALU_DEP_4) | instskip(NEXT) | instid1(VALU_DEP_2)
	v_add_f64_e32 v[64:65], v[68:69], v[64:65]
	v_fma_f64 v[224:225], v[10:11], s[34:35], v[202:203]
	v_fma_f64 v[68:69], v[10:11], s[38:39], v[202:203]
	;; [unrolled: 1-line block ×4, first 2 shown]
	s_delay_alu instid0(VALU_DEP_4)
	v_add_f64_e32 v[62:63], v[224:225], v[62:63]
	v_mul_f64_e32 v[224:225], s[20:21], v[26:27]
	v_add_f64_e32 v[66:67], v[68:69], v[66:67]
	v_add_f64_e32 v[74:75], v[202:203], v[74:75]
	v_mul_f64_e32 v[202:203], s[38:39], v[212:213]
	v_add_f64_e32 v[72:73], v[72:73], v[238:239]
	v_mul_f64_e32 v[238:239], s[14:15], v[48:49]
	v_mul_f64_e32 v[48:49], s[26:27], v[48:49]
	v_fma_f64 v[226:227], v[4:5], s[26:27], v[224:225]
	v_fma_f64 v[68:69], v[4:5], s[26:27], -v[224:225]
	v_fma_f64 v[224:225], v[12:13], s[30:31], v[202:203]
	s_delay_alu instid0(VALU_DEP_3) | instskip(SKIP_1) | instid1(VALU_DEP_4)
	v_add_f64_e32 v[60:61], v[226:227], v[60:61]
	v_mul_f64_e32 v[226:227], s[26:27], v[24:25]
	v_add_f64_e32 v[64:65], v[68:69], v[64:65]
	s_delay_alu instid0(VALU_DEP_2) | instskip(SKIP_1) | instid1(VALU_DEP_2)
	v_fma_f64 v[228:229], v[6:7], s[44:45], v[226:227]
	v_fma_f64 v[68:69], v[6:7], s[20:21], v[226:227]
	v_add_f64_e32 v[62:63], v[228:229], v[62:63]
	v_mul_f64_e32 v[228:229], s[12:13], v[46:47]
	s_delay_alu instid0(VALU_DEP_3) | instskip(NEXT) | instid1(VALU_DEP_2)
	v_add_f64_e32 v[66:67], v[68:69], v[66:67]
	v_fma_f64 v[242:243], v[0:1], s[18:19], v[228:229]
	v_fma_f64 v[68:69], v[0:1], s[18:19], -v[228:229]
	v_mul_f64_e32 v[228:229], s[30:31], v[216:217]
	s_delay_alu instid0(VALU_DEP_3) | instskip(SKIP_1) | instid1(VALU_DEP_4)
	v_add_f64_e32 v[60:61], v[242:243], v[60:61]
	v_mul_f64_e32 v[242:243], s[18:19], v[44:45]
	v_add_f64_e32 v[64:65], v[68:69], v[64:65]
	v_mul_f64_e32 v[68:69], s[40:41], v[218:219]
	s_delay_alu instid0(VALU_DEP_3) | instskip(SKIP_2) | instid1(VALU_DEP_3)
	v_fma_f64 v[70:71], v[2:3], s[12:13], v[242:243]
	v_fma_f64 v[244:245], v[2:3], s[40:41], v[242:243]
	v_mul_f64_e32 v[242:243], s[14:15], v[24:25]
	v_add_f64_e32 v[66:67], v[70:71], v[66:67]
	v_fma_f64 v[70:71], v[16:17], s[18:19], v[68:69]
	s_delay_alu instid0(VALU_DEP_4) | instskip(SKIP_2) | instid1(VALU_DEP_4)
	v_add_f64_e32 v[62:63], v[244:245], v[62:63]
	v_mul_f64_e32 v[244:245], s[44:45], v[46:47]
	v_fma_f64 v[68:69], v[16:17], s[18:19], -v[68:69]
	v_add_f64_e32 v[70:71], v[70:71], v[234:235]
	v_mul_f64_e32 v[234:235], s[46:47], v[26:27]
	s_delay_alu instid0(VALU_DEP_3) | instskip(SKIP_4) | instid1(VALU_DEP_1)
	v_add_f64_e32 v[68:69], v[68:69], v[236:237]
	v_mul_f64_e32 v[236:237], s[46:47], v[102:103]
	v_mul_f64_e32 v[102:103], s[44:45], v[102:103]
	v_add_f64_e32 v[70:71], v[224:225], v[70:71]
	v_fma_f64 v[224:225], v[14:15], s[34:35], v[228:229]
	v_add_f64_e32 v[74:75], v[224:225], v[74:75]
	v_fma_f64 v[224:225], v[8:9], s[28:29], v[230:231]
	s_delay_alu instid0(VALU_DEP_1) | instskip(SKIP_1) | instid1(VALU_DEP_1)
	v_add_f64_e32 v[70:71], v[224:225], v[70:71]
	v_fma_f64 v[224:225], v[10:11], s[36:37], v[232:233]
	v_add_f64_e32 v[74:75], v[224:225], v[74:75]
	v_fma_f64 v[224:225], v[4:5], s[14:15], v[234:235]
	s_delay_alu instid0(VALU_DEP_1) | instskip(SKIP_1) | instid1(VALU_DEP_1)
	;; [unrolled: 5-line block ×3, first 2 shown]
	v_add_f64_e32 v[224:225], v[224:225], v[70:71]
	v_mul_f64_e32 v[70:71], s[26:27], v[44:45]
	v_fma_f64 v[226:227], v[2:3], s[20:21], v[70:71]
	v_fma_f64 v[70:71], v[2:3], s[44:45], v[70:71]
	s_delay_alu instid0(VALU_DEP_2) | instskip(SKIP_1) | instid1(VALU_DEP_1)
	v_add_f64_e32 v[226:227], v[226:227], v[74:75]
	v_fma_f64 v[74:75], v[12:13], s[30:31], -v[202:203]
	v_add_f64_e32 v[68:69], v[74:75], v[68:69]
	v_fma_f64 v[74:75], v[14:15], s[38:39], v[228:229]
	s_delay_alu instid0(VALU_DEP_1) | instskip(SKIP_1) | instid1(VALU_DEP_1)
	v_add_f64_e32 v[72:73], v[74:75], v[72:73]
	v_fma_f64 v[74:75], v[8:9], s[28:29], -v[230:231]
	v_add_f64_e32 v[68:69], v[74:75], v[68:69]
	v_fma_f64 v[74:75], v[10:11], s[22:23], v[232:233]
	s_delay_alu instid0(VALU_DEP_1) | instskip(SKIP_1) | instid1(VALU_DEP_1)
	v_add_f64_e32 v[72:73], v[74:75], v[72:73]
	v_fma_f64 v[74:75], v[4:5], s[14:15], -v[234:235]
	v_add_f64_e32 v[68:69], v[74:75], v[68:69]
	v_fma_f64 v[74:75], v[6:7], s[46:47], v[242:243]
	v_mul_f64_e32 v[242:243], s[30:31], v[24:25]
	s_delay_alu instid0(VALU_DEP_2) | instskip(SKIP_3) | instid1(VALU_DEP_4)
	v_add_f64_e32 v[72:73], v[74:75], v[72:73]
	v_fma_f64 v[74:75], v[0:1], s[26:27], -v[244:245]
	v_mul_f64_e32 v[244:245], s[16:17], v[46:47]
	v_mul_f64_e32 v[46:47], s[36:37], v[46:47]
	v_add_f64_e32 v[230:231], v[70:71], v[72:73]
	v_mul_f64_e32 v[72:73], s[28:29], v[214:215]
	v_add_f64_e32 v[228:229], v[74:75], v[68:69]
	v_mul_f64_e32 v[68:69], s[36:37], v[218:219]
	s_delay_alu instid0(VALU_DEP_3) | instskip(SKIP_1) | instid1(VALU_DEP_3)
	v_fma_f64 v[74:75], v[18:19], s[22:23], v[72:73]
	v_fma_f64 v[72:73], v[18:19], s[36:37], v[72:73]
	;; [unrolled: 1-line block ×3, first 2 shown]
	v_fma_f64 v[68:69], v[16:17], s[28:29], -v[68:69]
	s_delay_alu instid0(VALU_DEP_4) | instskip(SKIP_1) | instid1(VALU_DEP_4)
	v_add_f64_e32 v[74:75], v[74:75], v[76:77]
	v_mul_f64_e32 v[76:77], s[20:21], v[212:213]
	v_add_f64_e32 v[70:71], v[70:71], v[240:241]
	v_mul_f64_e32 v[240:241], s[38:39], v[26:27]
	v_add_f64_e32 v[68:69], v[68:69], v[222:223]
	v_add_f64_e32 v[72:73], v[72:73], v[220:221]
	v_fma_f64 v[202:203], v[12:13], s[26:27], v[76:77]
	s_delay_alu instid0(VALU_DEP_1) | instskip(SKIP_1) | instid1(VALU_DEP_1)
	v_add_f64_e32 v[70:71], v[202:203], v[70:71]
	v_mul_f64_e32 v[202:203], s[26:27], v[216:217]
	v_fma_f64 v[232:233], v[14:15], s[44:45], v[202:203]
	s_delay_alu instid0(VALU_DEP_1) | instskip(SKIP_1) | instid1(VALU_DEP_1)
	v_add_f64_e32 v[74:75], v[232:233], v[74:75]
	v_fma_f64 v[232:233], v[8:9], s[14:15], v[236:237]
	v_add_f64_e32 v[70:71], v[232:233], v[70:71]
	v_fma_f64 v[232:233], v[10:11], s[10:11], v[238:239]
	s_delay_alu instid0(VALU_DEP_1) | instskip(SKIP_1) | instid1(VALU_DEP_1)
	v_add_f64_e32 v[74:75], v[232:233], v[74:75]
	v_fma_f64 v[232:233], v[4:5], s[30:31], v[240:241]
	v_add_f64_e32 v[70:71], v[232:233], v[70:71]
	v_fma_f64 v[232:233], v[6:7], s[34:35], v[242:243]
	s_delay_alu instid0(VALU_DEP_1) | instskip(SKIP_1) | instid1(VALU_DEP_1)
	v_add_f64_e32 v[74:75], v[232:233], v[74:75]
	v_fma_f64 v[232:233], v[0:1], s[24:25], v[244:245]
	v_add_f64_e32 v[232:233], v[232:233], v[70:71]
	v_mul_f64_e32 v[70:71], s[24:25], v[44:45]
	v_mul_f64_e32 v[44:45], s[28:29], v[44:45]
	s_delay_alu instid0(VALU_DEP_2) | instskip(SKIP_1) | instid1(VALU_DEP_2)
	v_fma_f64 v[234:235], v[2:3], s[42:43], v[70:71]
	v_fma_f64 v[70:71], v[2:3], s[16:17], v[70:71]
	v_add_f64_e32 v[234:235], v[234:235], v[74:75]
	v_fma_f64 v[74:75], v[12:13], s[26:27], -v[76:77]
	v_mul_f64_e32 v[76:77], s[12:13], v[212:213]
	s_delay_alu instid0(VALU_DEP_2) | instskip(SKIP_1) | instid1(VALU_DEP_1)
	v_add_f64_e32 v[68:69], v[74:75], v[68:69]
	v_fma_f64 v[74:75], v[14:15], s[20:21], v[202:203]
	v_add_f64_e32 v[72:73], v[74:75], v[72:73]
	v_fma_f64 v[74:75], v[8:9], s[14:15], -v[236:237]
	s_delay_alu instid0(VALU_DEP_1) | instskip(SKIP_1) | instid1(VALU_DEP_1)
	v_add_f64_e32 v[68:69], v[74:75], v[68:69]
	v_fma_f64 v[74:75], v[10:11], s[46:47], v[238:239]
	v_add_f64_e32 v[72:73], v[74:75], v[72:73]
	v_fma_f64 v[74:75], v[4:5], s[30:31], -v[240:241]
	s_delay_alu instid0(VALU_DEP_1) | instskip(SKIP_1) | instid1(VALU_DEP_1)
	v_add_f64_e32 v[68:69], v[74:75], v[68:69]
	v_fma_f64 v[74:75], v[6:7], s[38:39], v[242:243]
	v_add_f64_e32 v[72:73], v[74:75], v[72:73]
	v_fma_f64 v[74:75], v[0:1], s[24:25], -v[244:245]
	s_delay_alu instid0(VALU_DEP_2) | instskip(NEXT) | instid1(VALU_DEP_2)
	v_add_f64_e32 v[222:223], v[70:71], v[72:73]
	v_add_f64_e32 v[220:221], v[74:75], v[68:69]
	v_mul_f64_e32 v[68:69], s[38:39], v[218:219]
	v_mul_f64_e32 v[72:73], s[30:31], v[214:215]
	s_delay_alu instid0(VALU_DEP_2) | instskip(NEXT) | instid1(VALU_DEP_2)
	v_fma_f64 v[70:71], v[16:17], s[30:31], v[68:69]
	v_fma_f64 v[74:75], v[18:19], s[34:35], v[72:73]
	v_fma_f64 v[68:69], v[16:17], s[30:31], -v[68:69]
	v_fma_f64 v[72:73], v[18:19], s[38:39], v[72:73]
	v_fma_f64 v[16:17], v[16:17], s[26:27], -v[28:29]
	v_fma_f64 v[18:19], v[18:19], s[20:21], v[30:31]
	v_add_f64_e32 v[70:71], v[70:71], v[106:107]
	v_add_f64_e32 v[74:75], v[74:75], v[104:105]
	v_fma_f64 v[104:105], v[12:13], s[18:19], v[76:77]
	v_add_f64_e32 v[68:69], v[68:69], v[100:101]
	v_add_f64_e32 v[50:51], v[72:73], v[50:51]
	v_fma_f64 v[72:73], v[12:13], s[18:19], -v[76:77]
	v_fma_f64 v[12:13], v[12:13], s[28:29], -v[32:33]
	v_add_f64_e32 v[16:17], v[16:17], v[20:21]
	v_add_f64_e32 v[18:19], v[18:19], v[22:23]
	;; [unrolled: 1-line block ×3, first 2 shown]
	v_mul_f64_e32 v[104:105], s[18:19], v[216:217]
	v_add_f64_e32 v[68:69], v[72:73], v[68:69]
	v_add_f64_e32 v[12:13], v[12:13], v[16:17]
	s_delay_alu instid0(VALU_DEP_3) | instskip(SKIP_2) | instid1(VALU_DEP_3)
	v_fma_f64 v[106:107], v[14:15], s[40:41], v[104:105]
	v_fma_f64 v[72:73], v[14:15], s[12:13], v[104:105]
	;; [unrolled: 1-line block ×3, first 2 shown]
	v_add_f64_e32 v[74:75], v[106:107], v[74:75]
	v_fma_f64 v[106:107], v[8:9], s[26:27], v[102:103]
	s_delay_alu instid0(VALU_DEP_4)
	v_add_f64_e32 v[50:51], v[72:73], v[50:51]
	v_fma_f64 v[72:73], v[8:9], s[26:27], -v[102:103]
	v_fma_f64 v[8:9], v[8:9], s[24:25], -v[36:37]
	v_add_f64_e32 v[14:15], v[14:15], v[18:19]
	v_add_f64_e32 v[70:71], v[106:107], v[70:71]
	v_fma_f64 v[106:107], v[10:11], s[20:21], v[48:49]
	v_fma_f64 v[48:49], v[10:11], s[44:45], v[48:49]
	v_add_f64_e32 v[68:69], v[72:73], v[68:69]
	v_fma_f64 v[10:11], v[10:11], s[16:17], v[38:39]
	v_add_f64_e32 v[8:9], v[8:9], v[12:13]
	v_add_f64_e32 v[74:75], v[106:107], v[74:75]
	v_mul_f64_e32 v[106:107], s[16:17], v[26:27]
	v_add_f64_e32 v[48:49], v[48:49], v[50:51]
	v_add_f64_e32 v[10:11], v[10:11], v[14:15]
	s_delay_alu instid0(VALU_DEP_3) | instskip(SKIP_2) | instid1(VALU_DEP_3)
	v_fma_f64 v[26:27], v[4:5], s[24:25], v[106:107]
	v_fma_f64 v[50:51], v[4:5], s[24:25], -v[106:107]
	v_fma_f64 v[4:5], v[4:5], s[18:19], -v[40:41]
	v_add_f64_e32 v[26:27], v[26:27], v[70:71]
	v_mul_f64_e32 v[70:71], s[24:25], v[24:25]
	s_delay_alu instid0(VALU_DEP_4) | instskip(NEXT) | instid1(VALU_DEP_4)
	v_add_f64_e32 v[50:51], v[50:51], v[68:69]
	v_add_f64_e32 v[4:5], v[4:5], v[8:9]
	s_delay_alu instid0(VALU_DEP_3) | instskip(SKIP_2) | instid1(VALU_DEP_3)
	v_fma_f64 v[24:25], v[6:7], s[42:43], v[70:71]
	v_fma_f64 v[68:69], v[6:7], s[16:17], v[70:71]
	;; [unrolled: 1-line block ×3, first 2 shown]
	v_add_f64_e32 v[74:75], v[24:25], v[74:75]
	v_fma_f64 v[24:25], v[0:1], s[28:29], v[46:47]
	s_delay_alu instid0(VALU_DEP_4)
	v_add_f64_e32 v[48:49], v[68:69], v[48:49]
	v_fma_f64 v[46:47], v[0:1], s[28:29], -v[46:47]
	v_fma_f64 v[68:69], v[2:3], s[36:37], v[44:45]
	v_fma_f64 v[0:1], v[0:1], s[14:15], -v[78:79]
	v_add_f64_e32 v[6:7], v[6:7], v[10:11]
	v_add_f64_e32 v[24:25], v[24:25], v[26:27]
	v_fma_f64 v[26:27], v[2:3], s[22:23], v[44:45]
	v_fma_f64 v[2:3], v[2:3], s[10:11], v[200:201]
	v_add_f64_e32 v[44:45], v[46:47], v[50:51]
	v_add_f64_e32 v[46:47], v[68:69], v[48:49]
	;; [unrolled: 1-line block ×5, first 2 shown]
	ds_store_b128 v252, v[52:55] offset:32
	ds_store_b128 v252, v[60:63] offset:48
	;; [unrolled: 1-line block ×11, first 2 shown]
	ds_store_b128 v252, v[204:207]
	ds_store_b128 v252, v[200:203] offset:192
	global_wb scope:SCOPE_SE
	s_wait_dscnt 0x0
	s_barrier_signal -1
	s_barrier_wait -1
	global_inv scope:SCOPE_SE
	ds_load_b128 v[212:215], v255
	ds_load_b128 v[208:211], v255 offset:2496
	ds_load_b128 v[232:235], v255 offset:16224
	;; [unrolled: 1-line block ×11, first 2 shown]
	s_and_saveexec_b32 s1, vcc_lo
	s_cbranch_execz .LBB0_11
; %bb.10:
	ds_load_b128 v[200:203], v255 offset:7488
	ds_load_b128 v[192:195], v255 offset:15600
	;; [unrolled: 1-line block ×4, first 2 shown]
.LBB0_11:
	s_wait_alu 0xfffe
	s_or_b32 exec_lo, exec_lo, s1
	s_clause 0x6
	scratch_load_b128 v[24:27], off, off offset:292 th:TH_LOAD_LU
	scratch_load_b128 v[44:47], off, off offset:308 th:TH_LOAD_LU
	;; [unrolled: 1-line block ×7, first 2 shown]
	s_wait_dscnt 0x7
	v_mul_f64_e32 v[0:1], v[98:99], v[246:247]
	v_mul_f64_e32 v[2:3], v[98:99], v[244:245]
	;; [unrolled: 1-line block ×4, first 2 shown]
	s_wait_dscnt 0x3
	v_mul_f64_e32 v[8:9], v[94:95], v[250:251]
	v_mul_f64_e32 v[10:11], v[94:95], v[248:249]
	global_wb scope:SCOPE_SE
	s_wait_loadcnt_dscnt 0x0
	s_barrier_signal -1
	s_barrier_wait -1
	global_inv scope:SCOPE_SE
	v_mul_f64_e32 v[12:13], v[90:91], v[242:243]
	v_mul_f64_e32 v[14:15], v[90:91], v[240:241]
	;; [unrolled: 1-line block ×4, first 2 shown]
	v_fma_f64 v[0:1], v[96:97], v[244:245], v[0:1]
	v_fma_f64 v[2:3], v[96:97], v[246:247], -v[2:3]
	v_fma_f64 v[4:5], v[84:85], v[232:233], v[4:5]
	v_fma_f64 v[6:7], v[84:85], v[234:235], -v[6:7]
	;; [unrolled: 2-line block ×5, first 2 shown]
	s_delay_alu instid0(VALU_DEP_2) | instskip(NEXT) | instid1(VALU_DEP_2)
	v_add_f64_e64 v[16:17], v[208:209], -v[16:17]
	v_add_f64_e64 v[18:19], v[210:211], -v[18:19]
	v_mul_f64_e32 v[20:21], v[26:27], v[238:239]
	v_mul_f64_e32 v[22:23], v[26:27], v[236:237]
	;; [unrolled: 1-line block ×3, first 2 shown]
	s_delay_alu instid0(VALU_DEP_3) | instskip(NEXT) | instid1(VALU_DEP_3)
	v_fma_f64 v[20:21], v[24:25], v[236:237], v[20:21]
	v_fma_f64 v[22:23], v[24:25], v[238:239], -v[22:23]
	v_mul_f64_e32 v[24:25], v[30:31], v[230:231]
	s_delay_alu instid0(VALU_DEP_4) | instskip(SKIP_1) | instid1(VALU_DEP_3)
	v_fma_f64 v[26:27], v[28:29], v[230:231], -v[26:27]
	v_mul_f64_e32 v[30:31], v[34:35], v[220:221]
	v_fma_f64 v[24:25], v[28:29], v[228:229], v[24:25]
	v_mul_f64_e32 v[28:29], v[34:35], v[222:223]
	s_delay_alu instid0(VALU_DEP_3) | instskip(SKIP_1) | instid1(VALU_DEP_3)
	v_fma_f64 v[30:31], v[32:33], v[222:223], -v[30:31]
	v_mul_f64_e32 v[34:35], v[38:39], v[216:217]
	v_fma_f64 v[28:29], v[32:33], v[220:221], v[28:29]
	v_mul_f64_e32 v[32:33], v[38:39], v[218:219]
	s_delay_alu instid0(VALU_DEP_3) | instskip(SKIP_1) | instid1(VALU_DEP_3)
	;; [unrolled: 5-line block ×4, first 2 shown]
	v_fma_f64 v[42:43], v[44:45], v[198:199], -v[42:43]
	v_mul_f64_e32 v[46:47], v[50:51], v[136:137]
	v_fma_f64 v[40:41], v[44:45], v[196:197], v[40:41]
	v_mul_f64_e32 v[44:45], v[50:51], v[138:139]
	s_delay_alu instid0(VALU_DEP_3) | instskip(SKIP_2) | instid1(VALU_DEP_4)
	v_fma_f64 v[46:47], v[48:49], v[138:139], -v[46:47]
	v_add_f64_e64 v[50:51], v[214:215], -v[6:7]
	v_add_f64_e64 v[6:7], v[2:3], -v[10:11]
	v_fma_f64 v[44:45], v[48:49], v[136:137], v[44:45]
	v_add_f64_e64 v[48:49], v[212:213], -v[4:5]
	v_add_f64_e64 v[4:5], v[0:1], -v[8:9]
	s_delay_alu instid0(VALU_DEP_4) | instskip(SKIP_1) | instid1(VALU_DEP_4)
	v_fma_f64 v[10:11], v[2:3], 2.0, -v[6:7]
	v_fma_f64 v[54:55], v[214:215], 2.0, -v[50:51]
	;; [unrolled: 1-line block ×3, first 2 shown]
	s_delay_alu instid0(VALU_DEP_4) | instskip(SKIP_3) | instid1(VALU_DEP_4)
	v_fma_f64 v[8:9], v[0:1], 2.0, -v[4:5]
	v_add_f64_e32 v[0:1], v[48:49], v[6:7]
	v_add_f64_e64 v[2:3], v[50:51], -v[4:5]
	v_add_f64_e64 v[6:7], v[54:55], -v[10:11]
	v_add_f64_e64 v[4:5], v[52:53], -v[8:9]
	s_delay_alu instid0(VALU_DEP_4)
	v_fma_f64 v[8:9], v[48:49], 2.0, -v[0:1]
	scratch_load_b32 v48, off, off offset:344 th:TH_LOAD_LU ; 4-byte Folded Reload
	v_fma_f64 v[10:11], v[50:51], 2.0, -v[2:3]
	s_wait_loadcnt 0x0
	ds_store_b128 v48, v[0:3] offset:624
	v_fma_f64 v[0:1], v[52:53], 2.0, -v[4:5]
	v_fma_f64 v[2:3], v[54:55], 2.0, -v[6:7]
	ds_store_b128 v48, v[4:7] offset:416
	ds_store_b128 v48, v[8:11] offset:208
	ds_store_b128 v48, v[0:3]
	scratch_load_b32 v48, off, off offset:324 th:TH_LOAD_LU ; 4-byte Folded Reload
	v_add_f64_e64 v[6:7], v[12:13], -v[20:21]
	v_add_f64_e64 v[4:5], v[14:15], -v[22:23]
	v_fma_f64 v[8:9], v[208:209], 2.0, -v[16:17]
	v_fma_f64 v[10:11], v[210:211], 2.0, -v[18:19]
	v_add_f64_e64 v[20:21], v[36:37], -v[44:45]
	v_add_f64_e64 v[22:23], v[38:39], -v[46:47]
	v_fma_f64 v[0:1], v[12:13], 2.0, -v[6:7]
	v_fma_f64 v[2:3], v[14:15], 2.0, -v[4:5]
	v_add_f64_e32 v[4:5], v[16:17], v[4:5]
	v_add_f64_e64 v[6:7], v[18:19], -v[6:7]
	v_fma_f64 v[36:37], v[36:37], 2.0, -v[20:21]
	v_fma_f64 v[38:39], v[38:39], 2.0, -v[22:23]
	v_add_f64_e64 v[0:1], v[8:9], -v[0:1]
	v_add_f64_e64 v[2:3], v[10:11], -v[2:3]
	v_fma_f64 v[12:13], v[16:17], 2.0, -v[4:5]
	v_fma_f64 v[14:15], v[18:19], 2.0, -v[6:7]
	v_add_f64_e64 v[16:17], v[204:205], -v[28:29]
	v_add_f64_e64 v[18:19], v[206:207], -v[30:31]
	;; [unrolled: 1-line block ×4, first 2 shown]
	v_fma_f64 v[8:9], v[8:9], 2.0, -v[0:1]
	v_fma_f64 v[10:11], v[10:11], 2.0, -v[2:3]
	s_wait_loadcnt 0x0
	ds_store_b128 v48, v[8:11]
	ds_store_b128 v48, v[12:15] offset:208
	ds_store_b128 v48, v[0:3] offset:416
	;; [unrolled: 1-line block ×3, first 2 shown]
	scratch_load_b32 v0, off, off offset:224 th:TH_LOAD_LU ; 4-byte Folded Reload
	v_add_f64_e64 v[10:11], v[24:25], -v[32:33]
	v_add_f64_e64 v[8:9], v[26:27], -v[34:35]
	v_fma_f64 v[32:33], v[204:205], 2.0, -v[16:17]
	v_fma_f64 v[34:35], v[206:207], 2.0, -v[18:19]
	v_add_f64_e32 v[64:65], v[28:29], v[22:23]
	v_add_f64_e64 v[66:67], v[30:31], -v[20:21]
	v_fma_f64 v[12:13], v[24:25], 2.0, -v[10:11]
	v_fma_f64 v[14:15], v[26:27], 2.0, -v[8:9]
	;; [unrolled: 1-line block ×4, first 2 shown]
	v_add_f64_e32 v[8:9], v[16:17], v[8:9]
	v_add_f64_e64 v[10:11], v[18:19], -v[10:11]
	v_fma_f64 v[56:57], v[28:29], 2.0, -v[64:65]
	v_fma_f64 v[58:59], v[30:31], 2.0, -v[66:67]
	v_add_f64_e64 v[12:13], v[32:33], -v[12:13]
	v_add_f64_e64 v[14:15], v[34:35], -v[14:15]
	;; [unrolled: 1-line block ×4, first 2 shown]
	v_fma_f64 v[16:17], v[16:17], 2.0, -v[8:9]
	v_fma_f64 v[18:19], v[18:19], 2.0, -v[10:11]
	;; [unrolled: 1-line block ×6, first 2 shown]
	s_wait_loadcnt 0x0
	ds_store_b128 v0, v[20:23]
	ds_store_b128 v0, v[16:19] offset:208
	ds_store_b128 v0, v[12:15] offset:416
	;; [unrolled: 1-line block ×3, first 2 shown]
	s_and_saveexec_b32 s1, vcc_lo
	s_cbranch_execz .LBB0_13
; %bb.12:
	s_clause 0x1
	scratch_load_b32 v0, off, off offset:456 th:TH_LOAD_LU
	scratch_load_b32 v1, off, off offset:220 th:TH_LOAD_LU
	s_wait_loadcnt 0x0
	v_mad_u16 v0, v0, 52, v1
	s_delay_alu instid0(VALU_DEP_1) | instskip(NEXT) | instid1(VALU_DEP_1)
	v_and_b32_e32 v0, 0xffff, v0
	v_lshlrev_b32_e32 v0, 4, v0
	ds_store_b128 v0, v[52:55]
	ds_store_b128 v0, v[56:59] offset:208
	ds_store_b128 v0, v[60:63] offset:416
	;; [unrolled: 1-line block ×3, first 2 shown]
.LBB0_13:
	s_wait_alu 0xfffe
	s_or_b32 exec_lo, exec_lo, s1
	global_wb scope:SCOPE_SE
	s_wait_dscnt 0x0
	s_barrier_signal -1
	s_barrier_wait -1
	global_inv scope:SCOPE_SE
	ds_load_b128 v[72:75], v255
	ds_load_b128 v[68:71], v255 offset:2496
	ds_load_b128 v[96:99], v255 offset:10816
	;; [unrolled: 1-line block ×11, first 2 shown]
	s_mov_b32 s1, exec_lo
	scratch_load_b32 v200, off, off offset:56 ; 4-byte Folded Reload
	s_wait_alu 0xfffe
	s_and_b32 s8, s1, s0
	s_wait_alu 0xfffe
	s_mov_b32 exec_lo, s8
	s_cbranch_execz .LBB0_15
; %bb.14:
	ds_load_b128 v[52:55], v255 offset:9984
	ds_load_b128 v[56:59], v255 offset:20800
	;; [unrolled: 1-line block ×3, first 2 shown]
.LBB0_15:
	s_or_b32 exec_lo, exec_lo, s1
	s_wait_dscnt 0x9
	v_mul_f64_e32 v[0:1], v[150:151], v[98:99]
	s_wait_dscnt 0x7
	v_mul_f64_e32 v[2:3], v[154:155], v[194:195]
	global_wb scope:SCOPE_SE
	s_wait_loadcnt_dscnt 0x0
	s_barrier_signal -1
	s_barrier_wait -1
	global_inv scope:SCOPE_SE
	v_mul_f64_e32 v[4:5], v[150:151], v[96:97]
	v_mul_f64_e32 v[6:7], v[154:155], v[192:193]
	v_mul_f64_e32 v[8:9], v[110:111], v[82:83]
	v_mul_f64_e32 v[10:11], v[114:115], v[90:91]
	v_mul_f64_e32 v[16:17], v[126:127], v[138:139]
	v_mul_f64_e32 v[18:19], v[130:131], v[198:199]
	v_mul_f64_e32 v[12:13], v[110:111], v[80:81]
	v_mul_f64_e32 v[14:15], v[114:115], v[88:89]
	v_mul_f64_e32 v[20:21], v[126:127], v[136:137]
	v_mul_f64_e32 v[24:25], v[142:143], v[86:87]
	v_mul_f64_e32 v[22:23], v[130:131], v[196:197]
	v_mul_f64_e32 v[28:29], v[142:143], v[84:85]
	s_mov_b32 s8, 0xe8584caa
	s_mov_b32 s9, 0xbfebb67a
	;; [unrolled: 1-line block ×3, first 2 shown]
	s_wait_alu 0xfffe
	s_mov_b32 s10, s8
	v_mul_f64_e32 v[26:27], v[146:147], v[94:95]
	v_mul_f64_e32 v[30:31], v[146:147], v[92:93]
	v_fma_f64 v[0:1], v[148:149], v[96:97], v[0:1]
	v_fma_f64 v[2:3], v[152:153], v[192:193], v[2:3]
	v_fma_f64 v[4:5], v[148:149], v[98:99], -v[4:5]
	v_fma_f64 v[6:7], v[152:153], v[194:195], -v[6:7]
	v_fma_f64 v[8:9], v[108:109], v[80:81], v[8:9]
	v_fma_f64 v[10:11], v[112:113], v[88:89], v[10:11]
	;; [unrolled: 1-line block ×4, first 2 shown]
	v_fma_f64 v[12:13], v[108:109], v[82:83], -v[12:13]
	v_fma_f64 v[14:15], v[112:113], v[90:91], -v[14:15]
	;; [unrolled: 1-line block ×3, first 2 shown]
	v_fma_f64 v[24:25], v[140:141], v[84:85], v[24:25]
	v_fma_f64 v[22:23], v[128:129], v[198:199], -v[22:23]
	v_fma_f64 v[28:29], v[140:141], v[86:87], -v[28:29]
	v_fma_f64 v[26:27], v[144:145], v[92:93], v[26:27]
	v_fma_f64 v[30:31], v[144:145], v[94:95], -v[30:31]
	v_add_f64_e32 v[48:49], v[72:73], v[0:1]
	v_add_f64_e32 v[32:33], v[0:1], v[2:3]
	;; [unrolled: 1-line block ×3, first 2 shown]
	v_add_f64_e64 v[50:51], v[4:5], -v[6:7]
	v_add_f64_e32 v[4:5], v[74:75], v[4:5]
	v_add_f64_e32 v[36:37], v[8:9], v[10:11]
	v_add_f64_e32 v[40:41], v[16:17], v[18:19]
	v_add_f64_e32 v[84:85], v[76:77], v[16:17]
	v_add_f64_e32 v[38:39], v[12:13], v[14:15]
	v_add_f64_e32 v[80:81], v[68:69], v[8:9]
	v_add_f64_e32 v[86:87], v[78:79], v[20:21]
	v_add_f64_e32 v[42:43], v[20:21], v[22:23]
	v_add_f64_e32 v[82:83], v[70:71], v[12:13]
	v_add_f64_e32 v[88:89], v[64:65], v[24:25]
	v_add_f64_e32 v[90:91], v[66:67], v[28:29]
	v_add_f64_e32 v[44:45], v[24:25], v[26:27]
	v_add_f64_e32 v[46:47], v[28:29], v[30:31]
	v_fma_f64 v[32:33], v[32:33], -0.5, v[72:73]
	v_add_f64_e64 v[72:73], v[0:1], -v[2:3]
	v_add_f64_e32 v[0:1], v[48:49], v[2:3]
	scratch_load_b32 v48, off, off offset:364 th:TH_LOAD_LU ; 4-byte Folded Reload
	v_fma_f64 v[34:35], v[34:35], -0.5, v[74:75]
	v_add_f64_e64 v[74:75], v[12:13], -v[14:15]
	v_add_f64_e32 v[2:3], v[4:5], v[6:7]
	v_fma_f64 v[36:37], v[36:37], -0.5, v[68:69]
	v_add_f64_e64 v[68:69], v[8:9], -v[10:11]
	v_fma_f64 v[40:41], v[40:41], -0.5, v[76:77]
	v_add_f64_e64 v[76:77], v[16:17], -v[18:19]
	v_add_f64_e32 v[8:9], v[84:85], v[18:19]
	v_fma_f64 v[38:39], v[38:39], -0.5, v[70:71]
	v_add_f64_e64 v[70:71], v[20:21], -v[22:23]
	v_add_f64_e32 v[4:5], v[80:81], v[10:11]
	v_add_f64_e32 v[10:11], v[86:87], v[22:23]
	;; [unrolled: 1-line block ×4, first 2 shown]
	v_fma_f64 v[42:43], v[42:43], -0.5, v[78:79]
	v_fma_f64 v[44:45], v[44:45], -0.5, v[64:65]
	v_add_f64_e64 v[64:65], v[24:25], -v[26:27]
	v_add_f64_e64 v[78:79], v[28:29], -v[30:31]
	v_add_f64_e32 v[14:15], v[90:91], v[30:31]
	v_fma_f64 v[46:47], v[46:47], -0.5, v[66:67]
	v_fma_f64 v[16:17], v[50:51], s[8:9], v[32:33]
	s_wait_alu 0xfffe
	v_fma_f64 v[20:21], v[50:51], s[10:11], v[32:33]
	v_fma_f64 v[18:19], v[72:73], s[10:11], v[34:35]
	;; [unrolled: 1-line block ×3, first 2 shown]
	s_wait_loadcnt 0x0
	ds_store_b128 v48, v[0:3]
	ds_store_b128 v48, v[16:19] offset:832
	ds_store_b128 v48, v[20:23] offset:1664
	scratch_load_b32 v0, off, off offset:360 th:TH_LOAD_LU ; 4-byte Folded Reload
	v_fma_f64 v[24:25], v[74:75], s[8:9], v[36:37]
	v_fma_f64 v[26:27], v[68:69], s[10:11], v[38:39]
	;; [unrolled: 1-line block ×12, first 2 shown]
	s_wait_loadcnt 0x0
	ds_store_b128 v0, v[4:7]
	ds_store_b128 v0, v[24:27] offset:832
	ds_store_b128 v0, v[28:31] offset:1664
	scratch_load_b32 v0, off, off offset:352 th:TH_LOAD_LU ; 4-byte Folded Reload
	s_wait_loadcnt 0x0
	ds_store_b128 v0, v[8:11]
	ds_store_b128 v0, v[32:35] offset:832
	ds_store_b128 v0, v[36:39] offset:1664
	scratch_load_b32 v0, off, off offset:356 th:TH_LOAD_LU ; 4-byte Folded Reload
	s_wait_loadcnt 0x0
	ds_store_b128 v0, v[12:15]
	ds_store_b128 v0, v[40:43] offset:832
	ds_store_b128 v0, v[44:47] offset:1664
	s_and_saveexec_b32 s1, s0
	s_cbranch_execz .LBB0_17
; %bb.16:
	s_clause 0x1
	scratch_load_b128 v[8:11], off, off offset:460 th:TH_LOAD_LU
	scratch_load_b128 v[12:15], off, off offset:476 th:TH_LOAD_LU
	s_wait_loadcnt 0x1
	v_mul_f64_e32 v[0:1], v[10:11], v[56:57]
	s_wait_loadcnt 0x0
	v_mul_f64_e32 v[2:3], v[14:15], v[60:61]
	v_mul_f64_e32 v[4:5], v[10:11], v[58:59]
	v_mul_f64_e32 v[6:7], v[14:15], v[62:63]
	s_delay_alu instid0(VALU_DEP_4) | instskip(NEXT) | instid1(VALU_DEP_4)
	v_fma_f64 v[0:1], v[8:9], v[58:59], -v[0:1]
	v_fma_f64 v[2:3], v[12:13], v[62:63], -v[2:3]
	s_delay_alu instid0(VALU_DEP_4) | instskip(NEXT) | instid1(VALU_DEP_4)
	v_fma_f64 v[4:5], v[8:9], v[56:57], v[4:5]
	v_fma_f64 v[6:7], v[12:13], v[60:61], v[6:7]
	s_delay_alu instid0(VALU_DEP_4) | instskip(NEXT) | instid1(VALU_DEP_4)
	v_add_f64_e32 v[14:15], v[54:55], v[0:1]
	v_add_f64_e32 v[8:9], v[2:3], v[0:1]
	v_add_f64_e64 v[16:17], v[0:1], -v[2:3]
	s_delay_alu instid0(VALU_DEP_4)
	v_add_f64_e32 v[10:11], v[6:7], v[4:5]
	v_add_f64_e64 v[12:13], v[4:5], -v[6:7]
	v_add_f64_e32 v[4:5], v[52:53], v[4:5]
	v_add_f64_e32 v[2:3], v[2:3], v[14:15]
	v_fma_f64 v[8:9], v[8:9], -0.5, v[54:55]
	v_fma_f64 v[18:19], v[10:11], -0.5, v[52:53]
	s_delay_alu instid0(VALU_DEP_4) | instskip(NEXT) | instid1(VALU_DEP_3)
	v_add_f64_e32 v[0:1], v[6:7], v[4:5]
	v_fma_f64 v[6:7], v[12:13], s[8:9], v[8:9]
	v_fma_f64 v[10:11], v[12:13], s[10:11], v[8:9]
	scratch_load_b32 v12, off, off offset:348 th:TH_LOAD_LU ; 4-byte Folded Reload
	v_fma_f64 v[8:9], v[16:17], s[8:9], v[18:19]
	v_fma_f64 v[4:5], v[16:17], s[10:11], v[18:19]
	s_wait_loadcnt 0x0
	v_lshlrev_b32_e32 v12, 4, v12
	ds_store_b128 v12, v[0:3] offset:29952
	ds_store_b128 v12, v[8:11] offset:30784
	;; [unrolled: 1-line block ×3, first 2 shown]
.LBB0_17:
	s_wait_alu 0xfffe
	s_or_b32 exec_lo, exec_lo, s1
	global_wb scope:SCOPE_SE
	s_wait_dscnt 0x0
	s_barrier_signal -1
	s_barrier_wait -1
	global_inv scope:SCOPE_SE
	ds_load_b128 v[0:3], v255 offset:2496
	ds_load_b128 v[6:9], v255 offset:29952
	;; [unrolled: 1-line block ×4, first 2 shown]
	ds_load_b128 v[52:55], v255
	ds_load_b128 v[18:21], v255 offset:7488
	ds_load_b128 v[22:25], v255 offset:24960
	;; [unrolled: 1-line block ×8, first 2 shown]
	s_mov_b32 s12, 0x4267c47c
	s_mov_b32 s14, 0xe00740e9
	;; [unrolled: 1-line block ×13, first 2 shown]
	s_wait_dscnt 0xc
	v_mul_f64_e32 v[4:5], v[158:159], v[2:3]
	v_mul_f64_e32 v[50:51], v[158:159], v[0:1]
	s_wait_dscnt 0xb
	v_mul_f64_e32 v[56:57], v[190:191], v[6:7]
	s_wait_dscnt 0xa
	v_mul_f64_e32 v[58:59], v[122:123], v[10:11]
	v_mul_f64_e32 v[62:63], v[122:123], v[12:13]
	s_wait_dscnt 0x6
	v_mul_f64_e32 v[66:67], v[182:183], v[22:23]
	v_mul_f64_e32 v[70:71], v[190:191], v[8:9]
	;; [unrolled: 1-line block ×3, first 2 shown]
	s_wait_dscnt 0x5
	v_mul_f64_e32 v[76:77], v[134:135], v[26:27]
	v_mul_f64_e32 v[78:79], v[182:183], v[24:25]
	s_wait_dscnt 0x2
	v_mul_f64_e32 v[80:81], v[178:179], v[40:41]
	v_mul_f64_e32 v[60:61], v[186:187], v[14:15]
	;; [unrolled: 1-line block ×8, first 2 shown]
	s_wait_dscnt 0x1
	v_mul_f64_e32 v[86:87], v[162:163], v[42:43]
	s_wait_dscnt 0x0
	v_mul_f64_e32 v[88:89], v[174:175], v[48:49]
	v_mul_f64_e32 v[90:91], v[174:175], v[46:47]
	s_mov_b32 s21, 0x3fbedb7d
	s_mov_b32 s29, 0xbfd6b1d8
	;; [unrolled: 1-line block ×16, first 2 shown]
	s_wait_alu 0xfffe
	s_mov_b32 s0, s12
	v_fma_f64 v[84:85], v[156:157], v[0:1], v[4:5]
	v_fma_f64 v[50:51], v[156:157], v[2:3], -v[50:51]
	v_fma_f64 v[0:1], v[188:189], v[8:9], -v[56:57]
	;; [unrolled: 1-line block ×3, first 2 shown]
	v_mul_f64_e32 v[58:59], v[166:167], v[30:31]
	v_fma_f64 v[8:9], v[180:181], v[24:25], -v[66:67]
	v_fma_f64 v[24:25], v[120:121], v[10:11], v[62:63]
	v_fma_f64 v[2:3], v[188:189], v[6:7], v[70:71]
	;; [unrolled: 1-line block ×4, first 2 shown]
	v_fma_f64 v[22:23], v[132:133], v[28:29], -v[76:77]
	v_fma_f64 v[14:15], v[176:177], v[38:39], v[80:81]
	v_fma_f64 v[4:5], v[184:185], v[16:17], -v[60:61]
	v_mul_f64_e32 v[16:17], v[166:167], v[32:33]
	v_fma_f64 v[20:21], v[116:117], v[20:21], -v[64:65]
	v_fma_f64 v[62:63], v[116:117], v[18:19], v[68:69]
	v_fma_f64 v[18:19], v[168:169], v[34:35], v[92:93]
	v_mul_f64_e32 v[60:61], v[162:163], v[44:45]
	v_fma_f64 v[12:13], v[176:177], v[40:41], -v[82:83]
	v_fma_f64 v[26:27], v[132:133], v[26:27], v[72:73]
	v_fma_f64 v[44:45], v[160:161], v[44:45], -v[86:87]
	v_fma_f64 v[46:47], v[172:173], v[46:47], v[88:89]
	v_fma_f64 v[48:49], v[172:173], v[48:49], -v[90:91]
	s_mov_b32 s8, s10
	s_mov_b32 s22, s18
	s_mov_b32 s30, s26
	s_mov_b32 s38, s24
	s_mov_b32 s35, 0x3fcea1e5
	s_mov_b32 s34, s40
	v_add_f64_e32 v[28:29], v[52:53], v[84:85]
	v_add_f64_e32 v[38:39], v[54:55], v[50:51]
	v_add_f64_e64 v[40:41], v[50:51], -v[0:1]
	v_add_f64_e32 v[50:51], v[50:51], v[0:1]
	v_fma_f64 v[32:33], v[164:165], v[32:33], -v[58:59]
	v_add_f64_e32 v[58:59], v[84:85], v[2:3]
	v_add_f64_e32 v[68:69], v[24:25], v[6:7]
	v_add_f64_e64 v[70:71], v[24:25], -v[6:7]
	v_add_f64_e64 v[64:65], v[56:57], -v[4:5]
	v_fma_f64 v[30:31], v[164:165], v[30:31], v[16:17]
	v_fma_f64 v[16:17], v[168:169], v[36:37], -v[94:95]
	v_add_f64_e64 v[34:35], v[20:21], -v[8:9]
	v_add_f64_e32 v[36:37], v[20:21], v[8:9]
	v_add_f64_e32 v[66:67], v[56:57], v[4:5]
	v_fma_f64 v[42:43], v[160:161], v[42:43], v[60:61]
	v_add_f64_e64 v[60:61], v[84:85], -v[2:3]
	v_add_f64_e32 v[72:73], v[62:63], v[10:11]
	v_add_f64_e64 v[74:75], v[62:63], -v[10:11]
	v_add_f64_e32 v[76:77], v[26:27], v[14:15]
	v_add_f64_e32 v[78:79], v[22:23], v[12:13]
	v_add_f64_e64 v[80:81], v[26:27], -v[14:15]
	v_add_f64_e64 v[82:83], v[22:23], -v[12:13]
	v_add_f64_e32 v[24:25], v[28:29], v[24:25]
	v_add_f64_e32 v[28:29], v[38:39], v[56:57]
	v_mul_f64_e32 v[38:39], s[12:13], v[40:41]
	v_mul_f64_e32 v[56:57], s[14:15], v[50:51]
	;; [unrolled: 1-line block ×20, first 2 shown]
	s_wait_alu 0xfffe
	v_mul_f64_e32 v[112:113], s[38:39], v[64:65]
	v_mul_f64_e32 v[116:117], s[22:23], v[64:65]
	;; [unrolled: 1-line block ×16, first 2 shown]
	v_add_f64_e32 v[24:25], v[24:25], v[62:63]
	v_add_f64_e32 v[20:21], v[28:29], v[20:21]
	v_fma_f64 v[28:29], v[58:59], s[14:15], v[38:39]
	v_fma_f64 v[62:63], v[60:61], s[0:1], v[56:57]
	v_fma_f64 v[38:39], v[58:59], s[14:15], -v[38:39]
	v_fma_f64 v[160:161], v[58:59], s[16:17], v[84:85]
	v_fma_f64 v[162:163], v[60:61], s[8:9], v[86:87]
	v_fma_f64 v[84:85], v[58:59], s[16:17], -v[84:85]
	v_fma_f64 v[86:87], v[60:61], s[10:11], v[86:87]
	v_fma_f64 v[164:165], v[58:59], s[20:21], v[88:89]
	;; [unrolled: 1-line block ×7, first 2 shown]
	v_fma_f64 v[88:89], v[58:59], s[20:21], -v[88:89]
	v_fma_f64 v[90:91], v[60:61], s[18:19], v[90:91]
	v_fma_f64 v[168:169], v[58:59], s[28:29], v[92:93]
	v_fma_f64 v[92:93], v[58:59], s[28:29], -v[92:93]
	v_fma_f64 v[172:173], v[58:59], s[36:37], v[96:97]
	v_fma_f64 v[96:97], v[58:59], s[36:37], -v[96:97]
	v_fma_f64 v[98:99], v[60:61], s[24:25], v[98:99]
	v_fma_f64 v[176:177], v[58:59], s[42:43], v[40:41]
	v_fma_f64 v[178:179], v[60:61], s[34:35], v[50:51]
	v_fma_f64 v[40:41], v[58:59], s[42:43], -v[40:41]
	v_fma_f64 v[50:51], v[60:61], s[40:41], v[50:51]
	v_fma_f64 v[58:59], v[68:69], s[16:17], v[100:101]
	;; [unrolled: 4-line block ×3, first 2 shown]
	v_fma_f64 v[104:105], v[68:69], s[28:29], -v[104:105]
	v_fma_f64 v[106:107], v[70:71], s[26:27], v[106:107]
	v_fma_f64 v[184:185], v[68:69], s[42:43], v[108:109]
	;; [unrolled: 1-line block ×4, first 2 shown]
	v_mul_f64_e32 v[140:141], s[26:27], v[82:83]
	v_mul_f64_e32 v[142:143], s[28:29], v[78:79]
	v_add_f64_e32 v[24:25], v[24:25], v[26:27]
	v_add_f64_e32 v[20:21], v[20:21], v[22:23]
	v_fma_f64 v[26:27], v[70:71], s[38:39], v[114:115]
	v_fma_f64 v[114:115], v[70:71], s[18:19], v[118:119]
	v_add_f64_e32 v[62:63], v[54:55], v[62:63]
	v_add_f64_e32 v[38:39], v[52:53], v[38:39]
	;; [unrolled: 1-line block ×10, first 2 shown]
	v_mul_f64_e32 v[144:145], s[38:39], v[82:83]
	v_mul_f64_e32 v[146:147], s[36:37], v[78:79]
	v_mul_f64_e32 v[148:149], s[0:1], v[82:83]
	v_mul_f64_e32 v[150:151], s[14:15], v[78:79]
	v_mul_f64_e32 v[152:153], s[18:19], v[82:83]
	v_mul_f64_e32 v[154:155], s[20:21], v[78:79]
	v_mul_f64_e32 v[156:157], s[34:35], v[82:83]
	v_mul_f64_e32 v[158:159], s[42:43], v[78:79]
	v_mul_f64_e32 v[82:83], s[8:9], v[82:83]
	v_mul_f64_e32 v[78:79], s[16:17], v[78:79]
	v_fma_f64 v[102:103], v[70:71], s[10:11], v[102:103]
	v_fma_f64 v[108:109], v[68:69], s[42:43], -v[108:109]
	v_fma_f64 v[110:111], v[70:71], s[40:41], v[110:111]
	v_fma_f64 v[188:189], v[68:69], s[36:37], v[112:113]
	v_fma_f64 v[22:23], v[68:69], s[36:37], -v[112:113]
	v_fma_f64 v[112:113], v[68:69], s[20:21], v[116:117]
	v_fma_f64 v[116:117], v[68:69], s[20:21], -v[116:117]
	v_fma_f64 v[118:119], v[70:71], s[22:23], v[118:119]
	v_add_f64_e32 v[28:29], v[52:53], v[28:29]
	v_fma_f64 v[192:193], v[68:69], s[14:15], v[64:65]
	v_fma_f64 v[194:195], v[70:71], s[12:13], v[66:67]
	v_fma_f64 v[64:65], v[68:69], s[14:15], -v[64:65]
	v_fma_f64 v[66:67], v[70:71], s[0:1], v[66:67]
	v_fma_f64 v[68:69], v[72:73], s[20:21], v[120:121]
	v_add_f64_e32 v[24:25], v[24:25], v[30:31]
	v_add_f64_e32 v[20:21], v[20:21], v[32:33]
	;; [unrolled: 1-line block ×3, first 2 shown]
	v_fma_f64 v[120:121], v[72:73], s[20:21], -v[120:121]
	v_add_f64_e32 v[88:89], v[52:53], v[88:89]
	v_add_f64_e32 v[90:91], v[54:55], v[90:91]
	;; [unrolled: 1-line block ×12, first 2 shown]
	v_fma_f64 v[52:53], v[72:73], s[42:43], v[124:125]
	v_fma_f64 v[54:55], v[74:75], s[34:35], v[126:127]
	v_add_f64_e32 v[60:61], v[60:61], v[62:63]
	v_fma_f64 v[62:63], v[74:75], s[26:27], v[130:131]
	v_add_f64_e32 v[38:39], v[100:101], v[38:39]
	v_add_f64_e32 v[160:161], v[180:181], v[160:161]
	;; [unrolled: 1-line block ×3, first 2 shown]
	v_fma_f64 v[182:183], v[74:75], s[8:9], v[138:139]
	v_add_f64_e32 v[84:85], v[104:105], v[84:85]
	v_add_f64_e32 v[86:87], v[106:107], v[86:87]
	;; [unrolled: 1-line block ×6, first 2 shown]
	v_add_f64_e64 v[164:165], v[32:33], -v[16:17]
	v_add_f64_e32 v[32:33], v[32:33], v[16:17]
	v_fma_f64 v[70:71], v[74:75], s[22:23], v[122:123]
	v_fma_f64 v[122:123], v[74:75], s[18:19], v[122:123]
	v_fma_f64 v[124:125], v[72:73], s[42:43], -v[124:125]
	v_fma_f64 v[126:127], v[74:75], s[40:41], v[126:127]
	v_add_f64_e32 v[28:29], v[58:59], v[28:29]
	v_fma_f64 v[58:59], v[72:73], s[28:29], v[128:129]
	v_add_f64_e32 v[24:25], v[24:25], v[42:43]
	v_add_f64_e32 v[20:21], v[20:21], v[44:45]
	v_fma_f64 v[128:129], v[72:73], s[28:29], -v[128:129]
	v_fma_f64 v[130:131], v[74:75], s[30:31], v[130:131]
	v_fma_f64 v[100:101], v[72:73], s[14:15], v[132:133]
	v_add_f64_e32 v[56:57], v[102:103], v[56:57]
	v_fma_f64 v[102:103], v[74:75], s[12:13], v[134:135]
	v_fma_f64 v[132:133], v[72:73], s[14:15], -v[132:133]
	v_fma_f64 v[134:135], v[74:75], s[0:1], v[134:135]
	v_fma_f64 v[180:181], v[72:73], s[16:17], v[136:137]
	v_fma_f64 v[136:137], v[72:73], s[16:17], -v[136:137]
	v_fma_f64 v[138:139], v[74:75], s[10:11], v[138:139]
	v_add_f64_e32 v[88:89], v[108:109], v[88:89]
	v_add_f64_e32 v[90:91], v[110:111], v[90:91]
	;; [unrolled: 1-line block ×6, first 2 shown]
	v_fma_f64 v[112:113], v[72:73], s[36:37], v[34:35]
	v_fma_f64 v[114:115], v[74:75], s[38:39], v[36:37]
	v_fma_f64 v[34:35], v[72:73], s[36:37], -v[34:35]
	v_fma_f64 v[36:37], v[74:75], s[24:25], v[36:37]
	v_fma_f64 v[72:73], v[76:77], s[28:29], v[140:141]
	v_fma_f64 v[74:75], v[80:81], s[30:31], v[142:143]
	v_fma_f64 v[140:141], v[76:77], s[28:29], -v[140:141]
	v_fma_f64 v[142:143], v[80:81], s[26:27], v[142:143]
	;; [unrolled: 4-line block ×5, first 2 shown]
	v_fma_f64 v[186:187], v[76:77], s[42:43], v[156:157]
	v_add_f64_e32 v[20:21], v[20:21], v[48:49]
	v_fma_f64 v[188:189], v[80:81], s[40:41], v[158:159]
	v_fma_f64 v[156:157], v[76:77], s[42:43], -v[156:157]
	v_fma_f64 v[158:159], v[80:81], s[34:35], v[158:159]
	v_fma_f64 v[190:191], v[76:77], s[16:17], v[82:83]
	v_fma_f64 v[76:77], v[76:77], s[16:17], -v[82:83]
	v_fma_f64 v[82:83], v[80:81], s[10:11], v[78:79]
	v_fma_f64 v[78:79], v[80:81], s[8:9], v[78:79]
	v_add_f64_e64 v[80:81], v[44:45], -v[48:49]
	v_add_f64_e32 v[44:45], v[44:45], v[48:49]
	v_add_f64_e32 v[96:97], v[116:117], v[96:97]
	;; [unrolled: 1-line block ×3, first 2 shown]
	v_add_f64_e64 v[42:43], v[42:43], -v[46:47]
	v_add_f64_e32 v[24:25], v[24:25], v[46:47]
	v_add_f64_e32 v[46:47], v[30:31], v[18:19]
	v_add_f64_e64 v[30:31], v[30:31], -v[18:19]
	v_add_f64_e32 v[98:99], v[118:119], v[98:99]
	v_mul_f64_e32 v[118:119], s[24:25], v[164:165]
	v_add_f64_e32 v[178:179], v[194:195], v[178:179]
	v_mul_f64_e32 v[194:195], s[20:21], v[32:33]
	v_add_f64_e32 v[40:41], v[64:65], v[40:41]
	v_add_f64_e32 v[50:51], v[66:67], v[50:51]
	v_mul_f64_e32 v[66:67], s[16:17], v[32:33]
	v_add_f64_e32 v[38:39], v[120:121], v[38:39]
	;; [unrolled: 3-line block ×3, first 2 shown]
	v_add_f64_e32 v[62:63], v[62:63], v[106:107]
	v_add_f64_e32 v[94:95], v[182:183], v[94:95]
	v_mul_f64_e32 v[48:49], s[36:37], v[32:33]
	v_mul_f64_e32 v[64:65], s[10:11], v[164:165]
	v_add_f64_e32 v[28:29], v[68:69], v[28:29]
	v_mul_f64_e32 v[68:69], s[34:35], v[164:165]
	v_add_f64_e32 v[56:57], v[122:123], v[56:57]
	v_add_f64_e32 v[58:59], v[58:59], v[104:105]
	;; [unrolled: 1-line block ×9, first 2 shown]
	v_mul_f64_e32 v[120:121], s[42:43], v[32:33]
	v_mul_f64_e32 v[32:33], s[28:29], v[32:33]
	;; [unrolled: 1-line block ×3, first 2 shown]
	v_add_f64_e32 v[100:101], v[100:101], v[108:109]
	v_mul_f64_e32 v[130:131], s[8:9], v[80:81]
	v_mul_f64_e32 v[128:129], s[36:37], v[44:45]
	;; [unrolled: 1-line block ×3, first 2 shown]
	v_add_f64_e32 v[96:97], v[136:137], v[96:97]
	v_mul_f64_e32 v[122:123], s[0:1], v[164:165]
	v_add_f64_e32 v[18:19], v[24:25], v[18:19]
	v_mul_f64_e32 v[164:165], s[26:27], v[164:165]
	v_add_f64_e32 v[84:85], v[124:125], v[84:85]
	v_add_f64_e32 v[98:99], v[138:139], v[98:99]
	v_fma_f64 v[110:111], v[46:47], s[36:37], v[118:119]
	v_fma_f64 v[118:119], v[46:47], s[36:37], -v[118:119]
	v_fma_f64 v[180:181], v[30:31], s[18:19], v[194:195]
	v_add_f64_e32 v[114:115], v[114:115], v[178:179]
	v_add_f64_e32 v[34:35], v[34:35], v[40:41]
	v_fma_f64 v[136:137], v[30:31], s[8:9], v[66:67]
	v_add_f64_e32 v[36:37], v[36:37], v[50:51]
	v_add_f64_e32 v[38:39], v[140:141], v[38:39]
	;; [unrolled: 3-line block ×3, first 2 shown]
	v_add_f64_e32 v[94:95], v[188:189], v[94:95]
	v_fma_f64 v[132:133], v[30:31], s[38:39], v[48:49]
	v_fma_f64 v[48:49], v[30:31], s[24:25], v[48:49]
	;; [unrolled: 1-line block ×5, first 2 shown]
	v_fma_f64 v[68:69], v[46:47], s[42:43], -v[68:69]
	v_add_f64_e32 v[28:29], v[72:73], v[28:29]
	v_add_f64_e32 v[56:57], v[142:143], v[56:57]
	;; [unrolled: 1-line block ×9, first 2 shown]
	v_fma_f64 v[194:195], v[30:31], s[22:23], v[194:195]
	v_fma_f64 v[176:177], v[30:31], s[40:41], v[120:121]
	;; [unrolled: 1-line block ×7, first 2 shown]
	v_add_f64_e32 v[14:15], v[18:19], v[14:15]
	v_fma_f64 v[16:17], v[30:31], s[26:27], v[32:33]
	v_add_f64_e32 v[30:31], v[70:71], v[60:61]
	v_mul_f64_e32 v[162:163], s[40:41], v[80:81]
	v_mul_f64_e32 v[126:127], s[0:1], v[80:81]
	;; [unrolled: 1-line block ×3, first 2 shown]
	v_fma_f64 v[134:135], v[46:47], s[20:21], v[192:193]
	v_add_f64_e32 v[82:83], v[82:83], v[114:115]
	v_fma_f64 v[114:115], v[116:117], s[16:17], -v[130:131]
	v_add_f64_e32 v[52:53], v[166:167], v[52:53]
	v_add_f64_e32 v[36:37], v[78:79], v[36:37]
	v_fma_f64 v[78:79], v[116:117], s[16:17], v[130:131]
	v_fma_f64 v[130:131], v[42:43], s[30:31], v[20:21]
	v_add_f64_e32 v[20:21], v[118:119], v[38:39]
	v_add_f64_e32 v[38:39], v[180:181], v[54:55]
	;; [unrolled: 1-line block ×4, first 2 shown]
	v_mul_f64_e32 v[106:107], s[24:25], v[80:81]
	v_mul_f64_e32 v[124:125], s[42:43], v[44:45]
	v_mul_f64_e32 v[24:25], s[16:17], v[44:45]
	v_fma_f64 v[64:65], v[46:47], s[16:17], -v[64:65]
	v_add_f64_e32 v[88:89], v[148:149], v[88:89]
	v_add_f64_e32 v[100:101], v[174:175], v[100:101]
	;; [unrolled: 1-line block ×3, first 2 shown]
	v_mul_f64_e32 v[108:109], s[26:27], v[80:81]
	v_add_f64_e32 v[8:9], v[12:13], v[8:9]
	v_fma_f64 v[178:179], v[46:47], s[14:15], v[122:123]
	v_add_f64_e32 v[92:93], v[186:187], v[92:93]
	v_mul_f64_e32 v[80:81], s[22:23], v[80:81]
	v_mul_f64_e32 v[44:45], s[20:21], v[44:45]
	v_fma_f64 v[192:193], v[46:47], s[20:21], -v[192:193]
	v_fma_f64 v[122:123], v[46:47], s[14:15], -v[122:123]
	v_fma_f64 v[18:19], v[46:47], s[28:29], v[164:165]
	v_fma_f64 v[46:47], v[46:47], s[28:29], -v[164:165]
	v_add_f64_e32 v[84:85], v[144:145], v[84:85]
	v_add_f64_e32 v[26:27], v[154:155], v[26:27]
	;; [unrolled: 1-line block ×14, first 2 shown]
	v_fma_f64 v[32:33], v[116:117], s[42:43], v[162:163]
	v_fma_f64 v[60:61], v[116:117], s[42:43], -v[162:163]
	v_fma_f64 v[162:163], v[116:117], s[14:15], v[126:127]
	v_fma_f64 v[164:165], v[42:43], s[12:13], v[104:105]
	v_add_f64_e32 v[30:31], v[134:135], v[52:53]
	v_add_f64_e32 v[22:23], v[140:141], v[54:55]
	v_fma_f64 v[126:127], v[116:117], s[14:15], -v[126:127]
	v_fma_f64 v[72:73], v[116:117], s[36:37], v[106:107]
	v_fma_f64 v[70:71], v[42:43], s[40:41], v[124:125]
	v_fma_f64 v[76:77], v[116:117], s[36:37], -v[106:107]
	v_fma_f64 v[106:107], v[42:43], s[10:11], v[24:25]
	v_add_f64_e32 v[56:57], v[64:65], v[88:89]
	v_add_f64_e32 v[62:63], v[138:139], v[100:101]
	v_add_f64_e32 v[64:65], v[176:177], v[102:103]
	v_fma_f64 v[74:75], v[116:117], s[28:29], v[108:109]
	v_add_f64_e32 v[94:95], v[8:9], v[4:5]
	v_fma_f64 v[108:109], v[116:117], s[28:29], -v[108:109]
	v_add_f64_e32 v[68:69], v[178:179], v[92:93]
	v_fma_f64 v[144:145], v[116:117], s[20:21], v[80:81]
	v_fma_f64 v[146:147], v[42:43], s[18:19], v[44:45]
	v_fma_f64 v[80:81], v[116:117], s[20:21], -v[80:81]
	v_fma_f64 v[116:117], v[42:43], s[22:23], v[44:45]
	v_add_f64_e32 v[50:51], v[50:51], v[82:83]
	v_fma_f64 v[88:89], v[42:43], s[8:9], v[24:25]
	v_add_f64_e32 v[44:45], v[192:193], v[84:85]
	v_add_f64_e32 v[26:27], v[120:121], v[26:27]
	;; [unrolled: 1-line block ×4, first 2 shown]
	v_fma_f64 v[90:91], v[42:43], s[24:25], v[128:129]
	v_add_f64_e32 v[82:83], v[16:17], v[36:37]
	v_add_f64_e32 v[6:7], v[10:11], v[6:7]
	v_fma_f64 v[92:93], v[42:43], s[0:1], v[104:105]
	s_mul_u64 s[0:1], s[4:5], 0x9c0
	v_add_f64_e32 v[52:53], v[194:195], v[86:87]
	v_add_f64_e32 v[84:85], v[122:123], v[96:97]
	;; [unrolled: 1-line block ×3, first 2 shown]
	v_fma_f64 v[96:97], v[42:43], s[34:35], v[124:125]
	v_add_f64_e32 v[98:99], v[132:133], v[12:13]
	v_add_f64_e32 v[4:5], v[32:33], v[14:15]
	;; [unrolled: 1-line block ×13, first 2 shown]
	scratch_load_b64 v[0:1], off, off th:TH_LOAD_LU ; 8-byte Folded Reload
	v_add_f64_e32 v[36:37], v[74:75], v[68:69]
	v_add_f64_e32 v[46:47], v[146:147], v[50:51]
	;; [unrolled: 1-line block ×7, first 2 shown]
	v_mad_co_u64_u32 v[58:59], null, s4, v200, 0
	v_add_f64_e32 v[50:51], v[116:117], v[82:83]
	v_add_f64_e32 v[18:19], v[92:93], v[52:53]
	;; [unrolled: 1-line block ×6, first 2 shown]
	ds_store_b128 v255, v[12:15] offset:4992
	ds_store_b128 v255, v[20:23] offset:7488
	ds_store_b128 v255, v[28:31] offset:9984
	ds_store_b128 v255, v[36:39] offset:12480
	ds_store_b128 v255, v[44:47] offset:14976
	ds_store_b128 v255, v[48:51] offset:17472
	ds_store_b128 v255, v[40:43] offset:19968
	ds_store_b128 v255, v[32:35] offset:22464
	ds_store_b128 v255, v[24:27] offset:24960
	ds_store_b128 v255, v[16:19] offset:27456
	ds_store_b128 v255, v[8:11] offset:29952
	ds_store_b128 v255, v[52:55]
	ds_store_b128 v255, v[4:7] offset:2496
	global_wb scope:SCOPE_SE
	s_wait_loadcnt_dscnt 0x0
	s_barrier_signal -1
	s_barrier_wait -1
	global_inv scope:SCOPE_SE
	ds_load_b128 v[8:11], v255 offset:4992
	v_mov_b32_e32 v1, v59
	ds_load_b128 v[4:7], v255 offset:2496
	v_mov_b32_e32 v2, v0
	s_delay_alu instid0(VALU_DEP_1) | instskip(NEXT) | instid1(VALU_DEP_1)
	v_mad_co_u64_u32 v[56:57], null, s6, v2, 0
	v_mov_b32_e32 v0, v57
	s_delay_alu instid0(VALU_DEP_1) | instskip(NEXT) | instid1(VALU_DEP_1)
	v_mad_co_u64_u32 v[2:3], null, s7, v2, v[0:1]
	v_mov_b32_e32 v57, v2
	v_mad_co_u64_u32 v[0:1], null, s5, v200, v[1:2]
	s_delay_alu instid0(VALU_DEP_2) | instskip(NEXT) | instid1(VALU_DEP_2)
	v_lshlrev_b64_e32 v[28:29], 4, v[56:57]
	v_mov_b32_e32 v59, v0
	ds_load_b128 v[0:3], v255
	v_add_co_u32 v82, vcc_lo, s2, v28
	ds_load_b128 v[12:15], v255 offset:7488
	ds_load_b128 v[16:19], v255 offset:9984
	;; [unrolled: 1-line block ×4, first 2 shown]
	s_wait_alu 0xfffd
	v_add_co_ci_u32_e32 v83, vcc_lo, s3, v29, vcc_lo
	ds_load_b128 v[28:31], v255 offset:17472
	ds_load_b128 v[32:35], v255 offset:19968
	;; [unrolled: 1-line block ×6, first 2 shown]
	s_clause 0x1
	scratch_load_b128 v[114:117], off, off offset:24 th:TH_LOAD_LU
	scratch_load_b128 v[110:113], off, off offset:8 th:TH_LOAD_LU
	v_lshlrev_b64_e32 v[52:53], 4, v[58:59]
	s_mov_b32 s2, 0xfc7729e9
	s_mov_b32 s3, 0x3f402864
	s_delay_alu instid0(VALU_DEP_1) | instskip(SKIP_1) | instid1(VALU_DEP_2)
	v_add_co_u32 v52, vcc_lo, v82, v52
	s_wait_alu 0xfffd
	v_add_co_ci_u32_e32 v53, vcc_lo, v83, v53, vcc_lo
	s_wait_alu 0xfffe
	s_delay_alu instid0(VALU_DEP_2) | instskip(SKIP_1) | instid1(VALU_DEP_2)
	v_add_co_u32 v106, vcc_lo, v52, s0
	s_wait_alu 0xfffd
	v_add_co_ci_u32_e32 v107, vcc_lo, s1, v53, vcc_lo
	s_delay_alu instid0(VALU_DEP_2) | instskip(SKIP_1) | instid1(VALU_DEP_2)
	v_add_co_u32 v108, vcc_lo, v106, s0
	s_wait_alu 0xfffd
	v_add_co_ci_u32_e32 v109, vcc_lo, s1, v107, vcc_lo
	s_wait_loadcnt_dscnt 0x10a
	v_mul_f64_e32 v[54:55], v[116:117], v[2:3]
	v_mul_f64_e32 v[56:57], v[116:117], v[0:1]
	scratch_load_b128 v[116:119], off, off offset:40 th:TH_LOAD_LU ; 16-byte Folded Reload
	s_wait_loadcnt 0x1
	v_mul_f64_e32 v[58:59], v[112:113], v[6:7]
	v_mul_f64_e32 v[60:61], v[112:113], v[4:5]
	v_fma_f64 v[0:1], v[114:115], v[0:1], v[54:55]
	v_fma_f64 v[2:3], v[114:115], v[2:3], -v[56:57]
	v_add_co_u32 v54, vcc_lo, v108, s0
	v_fma_f64 v[4:5], v[110:111], v[4:5], v[58:59]
	v_fma_f64 v[6:7], v[110:111], v[6:7], -v[60:61]
	s_wait_alu 0xfffd
	v_add_co_ci_u32_e32 v55, vcc_lo, s1, v109, vcc_lo
	v_add_co_u32 v56, vcc_lo, v54, s0
	s_wait_alu 0xfffd
	s_delay_alu instid0(VALU_DEP_2) | instskip(NEXT) | instid1(VALU_DEP_2)
	v_add_co_ci_u32_e32 v57, vcc_lo, s1, v55, vcc_lo
	v_add_co_u32 v58, vcc_lo, v56, s0
	s_wait_alu 0xfffd
	s_delay_alu instid0(VALU_DEP_2) | instskip(NEXT) | instid1(VALU_DEP_2)
	v_add_co_ci_u32_e32 v59, vcc_lo, s1, v57, vcc_lo
	v_add_co_u32 v60, vcc_lo, v58, s0
	s_wait_alu 0xfffd
	s_delay_alu instid0(VALU_DEP_2)
	v_add_co_ci_u32_e32 v61, vcc_lo, s1, v59, vcc_lo
	v_mul_f64_e32 v[0:1], s[2:3], v[0:1]
	v_mul_f64_e32 v[2:3], s[2:3], v[2:3]
	;; [unrolled: 1-line block ×4, first 2 shown]
	s_wait_loadcnt 0x0
	v_mul_f64_e32 v[62:63], v[118:119], v[10:11]
	v_mul_f64_e32 v[64:65], v[118:119], v[8:9]
	scratch_load_b128 v[118:121], off, off offset:60 th:TH_LOAD_LU ; 16-byte Folded Reload
	v_fma_f64 v[8:9], v[116:117], v[8:9], v[62:63]
	v_fma_f64 v[10:11], v[116:117], v[10:11], -v[64:65]
	v_add_co_u32 v62, vcc_lo, v60, s0
	s_wait_alu 0xfffd
	v_add_co_ci_u32_e32 v63, vcc_lo, s1, v61, vcc_lo
	s_delay_alu instid0(VALU_DEP_2) | instskip(SKIP_1) | instid1(VALU_DEP_2)
	v_add_co_u32 v64, vcc_lo, v62, s0
	s_wait_alu 0xfffd
	v_add_co_ci_u32_e32 v65, vcc_lo, s1, v63, vcc_lo
	v_mul_f64_e32 v[8:9], s[2:3], v[8:9]
	v_mul_f64_e32 v[10:11], s[2:3], v[10:11]
	s_wait_loadcnt_dscnt 0x9
	v_mul_f64_e32 v[66:67], v[120:121], v[14:15]
	v_mul_f64_e32 v[68:69], v[120:121], v[12:13]
	scratch_load_b128 v[120:123], off, off offset:76 th:TH_LOAD_LU ; 16-byte Folded Reload
	v_fma_f64 v[12:13], v[118:119], v[12:13], v[66:67]
	v_fma_f64 v[14:15], v[118:119], v[14:15], -v[68:69]
	v_add_co_u32 v66, vcc_lo, v64, s0
	s_wait_alu 0xfffd
	v_add_co_ci_u32_e32 v67, vcc_lo, s1, v65, vcc_lo
	s_delay_alu instid0(VALU_DEP_4) | instskip(NEXT) | instid1(VALU_DEP_4)
	v_mul_f64_e32 v[12:13], s[2:3], v[12:13]
	v_mul_f64_e32 v[14:15], s[2:3], v[14:15]
	s_wait_loadcnt_dscnt 0x8
	v_mul_f64_e32 v[70:71], v[122:123], v[18:19]
	v_mul_f64_e32 v[72:73], v[122:123], v[16:17]
	scratch_load_b128 v[122:125], off, off offset:92 th:TH_LOAD_LU ; 16-byte Folded Reload
	v_fma_f64 v[16:17], v[120:121], v[16:17], v[70:71]
	v_fma_f64 v[18:19], v[120:121], v[18:19], -v[72:73]
	s_delay_alu instid0(VALU_DEP_2) | instskip(NEXT) | instid1(VALU_DEP_2)
	v_mul_f64_e32 v[16:17], s[2:3], v[16:17]
	v_mul_f64_e32 v[18:19], s[2:3], v[18:19]
	s_wait_loadcnt_dscnt 0x7
	v_mul_f64_e32 v[74:75], v[124:125], v[22:23]
	v_mul_f64_e32 v[76:77], v[124:125], v[20:21]
	scratch_load_b128 v[124:127], off, off offset:108 th:TH_LOAD_LU ; 16-byte Folded Reload
	v_fma_f64 v[20:21], v[122:123], v[20:21], v[74:75]
	v_fma_f64 v[22:23], v[122:123], v[22:23], -v[76:77]
	s_delay_alu instid0(VALU_DEP_2) | instskip(NEXT) | instid1(VALU_DEP_2)
	;; [unrolled: 9-line block ×7, first 2 shown]
	v_mul_f64_e32 v[40:41], s[2:3], v[40:41]
	v_mul_f64_e32 v[42:43], s[2:3], v[42:43]
	s_wait_loadcnt_dscnt 0x1
	v_mul_f64_e32 v[98:99], v[136:137], v[46:47]
	v_mul_f64_e32 v[100:101], v[136:137], v[44:45]
	scratch_load_b128 v[136:139], off, off offset:204 th:TH_LOAD_LU ; 16-byte Folded Reload
	s_clause 0x4
	global_store_b128 v[52:53], v[0:3], off
	global_store_b128 v[106:107], v[4:7], off
	;; [unrolled: 1-line block ×6, first 2 shown]
	v_add_co_u32 v0, vcc_lo, v66, s0
	s_wait_alu 0xfffd
	v_add_co_ci_u32_e32 v1, vcc_lo, s1, v67, vcc_lo
	global_store_b128 v[60:61], v[24:27], off
	v_add_co_u32 v2, vcc_lo, v0, s0
	s_wait_alu 0xfffd
	v_add_co_ci_u32_e32 v3, vcc_lo, s1, v1, vcc_lo
	global_store_b128 v[62:63], v[28:31], off
	v_add_co_u32 v4, vcc_lo, v2, s0
	s_wait_alu 0xfffd
	v_add_co_ci_u32_e32 v5, vcc_lo, s1, v3, vcc_lo
	v_fma_f64 v[44:45], v[134:135], v[44:45], v[98:99]
	v_fma_f64 v[46:47], v[134:135], v[46:47], -v[100:101]
	s_delay_alu instid0(VALU_DEP_2) | instskip(NEXT) | instid1(VALU_DEP_2)
	v_mul_f64_e32 v[44:45], s[2:3], v[44:45]
	v_mul_f64_e32 v[46:47], s[2:3], v[46:47]
	s_wait_loadcnt_dscnt 0x0
	v_mul_f64_e32 v[102:103], v[138:139], v[50:51]
	v_mul_f64_e32 v[104:105], v[138:139], v[48:49]
	s_delay_alu instid0(VALU_DEP_2) | instskip(NEXT) | instid1(VALU_DEP_2)
	v_fma_f64 v[48:49], v[136:137], v[48:49], v[102:103]
	v_fma_f64 v[50:51], v[136:137], v[50:51], -v[104:105]
	s_delay_alu instid0(VALU_DEP_2) | instskip(NEXT) | instid1(VALU_DEP_2)
	v_mul_f64_e32 v[48:49], s[2:3], v[48:49]
	v_mul_f64_e32 v[50:51], s[2:3], v[50:51]
	global_store_b128 v[64:65], v[32:35], off
	global_store_b128 v[66:67], v[36:39], off
	;; [unrolled: 1-line block ×5, first 2 shown]
.LBB0_18:
	s_nop 0
	s_sendmsg sendmsg(MSG_DEALLOC_VGPRS)
	s_endpgm
	.section	.rodata,"a",@progbits
	.p2align	6, 0x0
	.amdhsa_kernel bluestein_single_back_len2028_dim1_dp_op_CI_CI
		.amdhsa_group_segment_fixed_size 32448
		.amdhsa_private_segment_fixed_size 496
		.amdhsa_kernarg_size 104
		.amdhsa_user_sgpr_count 2
		.amdhsa_user_sgpr_dispatch_ptr 0
		.amdhsa_user_sgpr_queue_ptr 0
		.amdhsa_user_sgpr_kernarg_segment_ptr 1
		.amdhsa_user_sgpr_dispatch_id 0
		.amdhsa_user_sgpr_private_segment_size 0
		.amdhsa_wavefront_size32 1
		.amdhsa_uses_dynamic_stack 0
		.amdhsa_enable_private_segment 1
		.amdhsa_system_sgpr_workgroup_id_x 1
		.amdhsa_system_sgpr_workgroup_id_y 0
		.amdhsa_system_sgpr_workgroup_id_z 0
		.amdhsa_system_sgpr_workgroup_info 0
		.amdhsa_system_vgpr_workitem_id 0
		.amdhsa_next_free_vgpr 256
		.amdhsa_next_free_sgpr 48
		.amdhsa_reserve_vcc 1
		.amdhsa_float_round_mode_32 0
		.amdhsa_float_round_mode_16_64 0
		.amdhsa_float_denorm_mode_32 3
		.amdhsa_float_denorm_mode_16_64 3
		.amdhsa_fp16_overflow 0
		.amdhsa_workgroup_processor_mode 1
		.amdhsa_memory_ordered 1
		.amdhsa_forward_progress 0
		.amdhsa_round_robin_scheduling 0
		.amdhsa_exception_fp_ieee_invalid_op 0
		.amdhsa_exception_fp_denorm_src 0
		.amdhsa_exception_fp_ieee_div_zero 0
		.amdhsa_exception_fp_ieee_overflow 0
		.amdhsa_exception_fp_ieee_underflow 0
		.amdhsa_exception_fp_ieee_inexact 0
		.amdhsa_exception_int_div_zero 0
	.end_amdhsa_kernel
	.text
.Lfunc_end0:
	.size	bluestein_single_back_len2028_dim1_dp_op_CI_CI, .Lfunc_end0-bluestein_single_back_len2028_dim1_dp_op_CI_CI
                                        ; -- End function
	.section	.AMDGPU.csdata,"",@progbits
; Kernel info:
; codeLenInByte = 23140
; NumSgprs: 50
; NumVgprs: 256
; ScratchSize: 496
; MemoryBound: 0
; FloatMode: 240
; IeeeMode: 1
; LDSByteSize: 32448 bytes/workgroup (compile time only)
; SGPRBlocks: 6
; VGPRBlocks: 31
; NumSGPRsForWavesPerEU: 50
; NumVGPRsForWavesPerEU: 256
; Occupancy: 5
; WaveLimiterHint : 1
; COMPUTE_PGM_RSRC2:SCRATCH_EN: 1
; COMPUTE_PGM_RSRC2:USER_SGPR: 2
; COMPUTE_PGM_RSRC2:TRAP_HANDLER: 0
; COMPUTE_PGM_RSRC2:TGID_X_EN: 1
; COMPUTE_PGM_RSRC2:TGID_Y_EN: 0
; COMPUTE_PGM_RSRC2:TGID_Z_EN: 0
; COMPUTE_PGM_RSRC2:TIDIG_COMP_CNT: 0
	.text
	.p2alignl 7, 3214868480
	.fill 96, 4, 3214868480
	.type	__hip_cuid_aa40464040a66537,@object ; @__hip_cuid_aa40464040a66537
	.section	.bss,"aw",@nobits
	.globl	__hip_cuid_aa40464040a66537
__hip_cuid_aa40464040a66537:
	.byte	0                               ; 0x0
	.size	__hip_cuid_aa40464040a66537, 1

	.ident	"AMD clang version 19.0.0git (https://github.com/RadeonOpenCompute/llvm-project roc-6.4.0 25133 c7fe45cf4b819c5991fe208aaa96edf142730f1d)"
	.section	".note.GNU-stack","",@progbits
	.addrsig
	.addrsig_sym __hip_cuid_aa40464040a66537
	.amdgpu_metadata
---
amdhsa.kernels:
  - .args:
      - .actual_access:  read_only
        .address_space:  global
        .offset:         0
        .size:           8
        .value_kind:     global_buffer
      - .actual_access:  read_only
        .address_space:  global
        .offset:         8
        .size:           8
        .value_kind:     global_buffer
      - .actual_access:  read_only
        .address_space:  global
        .offset:         16
        .size:           8
        .value_kind:     global_buffer
      - .actual_access:  read_only
        .address_space:  global
        .offset:         24
        .size:           8
        .value_kind:     global_buffer
      - .actual_access:  read_only
        .address_space:  global
        .offset:         32
        .size:           8
        .value_kind:     global_buffer
      - .offset:         40
        .size:           8
        .value_kind:     by_value
      - .address_space:  global
        .offset:         48
        .size:           8
        .value_kind:     global_buffer
      - .address_space:  global
        .offset:         56
        .size:           8
        .value_kind:     global_buffer
      - .address_space:  global
        .offset:         64
        .size:           8
        .value_kind:     global_buffer
      - .address_space:  global
        .offset:         72
        .size:           8
        .value_kind:     global_buffer
      - .offset:         80
        .size:           4
        .value_kind:     by_value
      - .address_space:  global
        .offset:         88
        .size:           8
        .value_kind:     global_buffer
      - .address_space:  global
        .offset:         96
        .size:           8
        .value_kind:     global_buffer
    .group_segment_fixed_size: 32448
    .kernarg_segment_align: 8
    .kernarg_segment_size: 104
    .language:       OpenCL C
    .language_version:
      - 2
      - 0
    .max_flat_workgroup_size: 156
    .name:           bluestein_single_back_len2028_dim1_dp_op_CI_CI
    .private_segment_fixed_size: 496
    .sgpr_count:     50
    .sgpr_spill_count: 0
    .symbol:         bluestein_single_back_len2028_dim1_dp_op_CI_CI.kd
    .uniform_work_group_size: 1
    .uses_dynamic_stack: false
    .vgpr_count:     256
    .vgpr_spill_count: 123
    .wavefront_size: 32
    .workgroup_processor_mode: 1
amdhsa.target:   amdgcn-amd-amdhsa--gfx1201
amdhsa.version:
  - 1
  - 2
...

	.end_amdgpu_metadata
